;; amdgpu-corpus repo=zjin-lcf/HeCBench kind=compiled arch=gfx90a opt=O3
	.text
	.amdgcn_target "amdgcn-amd-amdhsa--gfx90a"
	.amdhsa_code_object_version 6
	.p2align	2                               ; -- Begin function _Z13ht_get_atomicP6loc_ht9cstr_typej
	.type	_Z13ht_get_atomicP6loc_ht9cstr_typej,@function
_Z13ht_get_atomicP6loc_ht9cstr_typej:   ; @_Z13ht_get_atomicP6loc_ht9cstr_typej
; %bb.0:
	s_waitcnt vmcnt(0) expcnt(0) lgkmcnt(0)
	s_or_saveexec_b64 s[4:5], -1
	buffer_store_dword v40, off, s[0:3], s32 ; 4-byte Folded Spill
	s_mov_b64 exec, s[4:5]
	v_writelane_b32 v40, s34, 0
	v_writelane_b32 v40, s35, 1
	v_writelane_b32 v40, s36, 2
	v_writelane_b32 v40, s30, 3
	v_writelane_b32 v40, s31, 4
	v_and_b32_e32 v11, 3, v2
	v_cmp_eq_u32_e64 s[4:5], 0, v11
	v_cmp_gt_i32_e64 s[6:7], 4, v4
	v_mov_b32_e32 v6, v5
	v_xor_b32_e32 v5, 0x3fb0bb5f, v4
	v_cmp_lt_i32_e32 vcc, 3, v4
	s_or_b64 s[4:5], s[4:5], s[6:7]
	s_and_saveexec_b64 s[6:7], s[4:5]
	s_xor_b64 s[4:5], exec, s[6:7]
	s_cbranch_execz .LBB0_12
; %bb.1:
	v_mov_b32_e32 v7, v4
	v_pk_mov_b32 v[8:9], v[2:3], v[2:3] op_sel:[0,1]
	s_and_saveexec_b64 s[6:7], vcc
	s_cbranch_execz .LBB0_5
; %bb.2:
	s_mov_b64 s[10:11], 0
	s_mov_b32 s12, 0x5bd1e995
	v_mov_b32_e32 v7, v4
	v_pk_mov_b32 v[8:9], v[2:3], v[2:3] op_sel:[0,1]
.LBB0_3:                                ; =>This Inner Loop Header: Depth=1
	flat_load_dword v10, v[8:9]
	v_add_co_u32_e32 v8, vcc, 4, v8
	v_mov_b32_e32 v11, v7
	v_addc_co_u32_e32 v9, vcc, 0, v9, vcc
	v_mul_lo_u32 v5, v5, s12
	v_cmp_gt_u32_e32 vcc, 8, v11
	v_add_u32_e32 v7, -4, v11
	s_or_b64 s[10:11], vcc, s[10:11]
	s_waitcnt vmcnt(0) lgkmcnt(0)
	v_mul_lo_u32 v10, v10, s12
	v_xor_b32_sdwa v10, v10, v10 dst_sel:DWORD dst_unused:UNUSED_PAD src0_sel:BYTE_3 src1_sel:DWORD
	v_mul_lo_u32 v10, v10, s12
	v_xor_b32_e32 v5, v10, v5
	s_andn2_b64 exec, exec, s[10:11]
	s_cbranch_execnz .LBB0_3
; %bb.4:
	s_or_b64 exec, exec, s[10:11]
.LBB0_5:
	s_or_b64 exec, exec, s[6:7]
	v_cmp_lt_i32_e32 vcc, 1, v7
	s_mov_b64 s[6:7], 0
	s_and_saveexec_b64 s[10:11], vcc
	s_xor_b64 s[10:11], exec, s[10:11]
	s_cbranch_execz .LBB0_484
; %bb.6:
	v_cmp_lt_i32_e32 vcc, 2, v7
	s_and_saveexec_b64 s[6:7], vcc
	s_cbranch_execz .LBB0_8
; %bb.7:
	flat_load_ubyte v7, v[8:9] offset:2
	s_waitcnt vmcnt(0) lgkmcnt(0)
	v_lshlrev_b32_e32 v7, 16, v7
	v_xor_b32_e32 v5, v7, v5
.LBB0_8:
	s_or_b64 exec, exec, s[6:7]
	flat_load_ubyte v7, v[8:9] offset:1
	s_mov_b64 s[6:7], exec
	s_waitcnt vmcnt(0) lgkmcnt(0)
	v_lshlrev_b32_e32 v7, 8, v7
	v_xor_b32_e32 v5, v7, v5
                                        ; implicit-def: $vgpr7
	s_andn2_saveexec_b64 s[10:11], s[10:11]
	s_cbranch_execnz .LBB0_485
.LBB0_9:
	s_or_b64 exec, exec, s[10:11]
	s_and_saveexec_b64 s[10:11], s[6:7]
	s_cbranch_execz .LBB0_11
.LBB0_10:
	flat_load_ubyte v7, v[8:9]
	s_mov_b32 s6, 0x5bd1e995
	s_waitcnt vmcnt(0) lgkmcnt(0)
	v_xor_b32_e32 v5, v5, v7
	v_mul_lo_u32 v5, v5, s6
.LBB0_11:
	s_or_b64 exec, exec, s[10:11]
                                        ; implicit-def: $vgpr11
.LBB0_12:
	s_andn2_saveexec_b64 s[4:5], s[4:5]
	s_cbranch_execz .LBB0_40
; %bb.13:
	v_cmp_gt_i32_e32 vcc, 3, v11
	v_mov_b32_e32 v12, 0
	s_and_saveexec_b64 s[6:7], vcc
	s_cbranch_execz .LBB0_17
; %bb.14:
	v_cmp_ne_u32_e32 vcc, 2, v11
	v_mov_b32_e32 v7, 0
	s_and_saveexec_b64 s[10:11], vcc
	s_cbranch_execz .LBB0_16
; %bb.15:
	flat_load_ubyte v7, v[2:3] offset:2
	s_waitcnt vmcnt(0) lgkmcnt(0)
	v_lshlrev_b32_e32 v7, 16, v7
.LBB0_16:
	s_or_b64 exec, exec, s[10:11]
	flat_load_ubyte v8, v[2:3] offset:1
	s_waitcnt vmcnt(0) lgkmcnt(0)
	v_lshl_or_b32 v12, v8, 8, v7
.LBB0_17:
	s_or_b64 exec, exec, s[6:7]
	flat_load_ubyte v14, v[2:3]
	v_sub_u32_e32 v7, 4, v11
	v_add_co_u32_e32 v8, vcc, v2, v7
	v_lshlrev_b32_e32 v10, 3, v11
	v_addc_co_u32_e32 v9, vcc, 0, v3, vcc
	v_sub_u32_e32 v13, v4, v7
	v_lshlrev_b32_e32 v7, 3, v7
	v_cmp_lt_u32_e32 vcc, 3, v13
	s_waitcnt vmcnt(0) lgkmcnt(0)
	v_or_b32_e32 v12, v12, v14
	v_lshlrev_b32_e32 v12, v10, v12
	s_and_saveexec_b64 s[6:7], vcc
	s_cbranch_execz .LBB0_21
; %bb.18:
	v_add_u32_e32 v15, v4, v11
	s_mov_b64 s[10:11], 0
	s_mov_b32 s12, 0x5bd1e995
.LBB0_19:                               ; =>This Inner Loop Header: Depth=1
	flat_load_dword v14, v[8:9]
	v_lshrrev_b32_e32 v12, v10, v12
	v_mov_b32_e32 v13, v15
	v_add_co_u32_e32 v8, vcc, 4, v8
	v_addc_co_u32_e32 v9, vcc, 0, v9, vcc
	v_add_u32_e32 v15, -4, v13
	v_mul_lo_u32 v5, v5, s12
	v_cmp_gt_u32_e32 vcc, 8, v15
	s_or_b64 s[10:11], vcc, s[10:11]
	s_waitcnt vmcnt(0) lgkmcnt(0)
	v_lshl_or_b32 v16, v14, v7, v12
	v_mul_lo_u32 v16, v16, s12
	v_xor_b32_sdwa v16, v16, v16 dst_sel:DWORD dst_unused:UNUSED_PAD src0_sel:BYTE_3 src1_sel:DWORD
	v_mul_lo_u32 v16, v16, s12
	v_mov_b32_e32 v12, v14
	v_xor_b32_e32 v5, v16, v5
	s_andn2_b64 exec, exec, s[10:11]
	s_cbranch_execnz .LBB0_19
; %bb.20:
	s_or_b64 exec, exec, s[10:11]
	v_add_u32_e32 v13, -8, v13
	v_mov_b32_e32 v12, v14
.LBB0_21:
	s_or_b64 exec, exec, s[6:7]
	v_cmp_ge_i32_e32 vcc, v13, v11
	s_and_saveexec_b64 s[6:7], vcc
	s_xor_b64 s[6:7], exec, s[6:7]
	s_cbranch_execz .LBB0_33
; %bb.22:
	v_cmp_lt_i32_e32 vcc, 2, v11
	s_mov_b64 s[10:11], 0
                                        ; implicit-def: $vgpr14
	s_and_saveexec_b64 s[12:13], vcc
	s_xor_b64 s[12:13], exec, s[12:13]
	s_cbranch_execz .LBB0_486
; %bb.23:
	flat_load_ubyte v14, v[8:9] offset:2
	s_mov_b64 s[10:11], exec
	s_waitcnt vmcnt(0) lgkmcnt(0)
	v_lshlrev_b32_e32 v14, 16, v14
	s_or_saveexec_b64 s[12:13], s[12:13]
                                        ; implicit-def: $sgpr14
	s_xor_b64 exec, exec, s[12:13]
	s_cbranch_execnz .LBB0_487
.LBB0_24:
	s_or_b64 exec, exec, s[12:13]
	v_mov_b32_e32 v15, s14
	s_and_saveexec_b64 s[12:13], s[10:11]
	s_cbranch_execz .LBB0_26
.LBB0_25:
	flat_load_ubyte v15, v[8:9] offset:1
	s_waitcnt vmcnt(0) lgkmcnt(0)
	v_lshl_or_b32 v15, v15, 8, v14
.LBB0_26:
	s_or_b64 exec, exec, s[12:13]
	flat_load_ubyte v14, v[8:9]
	v_lshrrev_b32_e32 v12, v10, v12
	v_sub_u32_e32 v10, v13, v11
	s_mov_b32 s10, 0x5bd1e995
	v_and_b32_e32 v16, 3, v2
	v_add_co_u32_e32 v8, vcc, v8, v16
	v_mul_lo_u32 v5, v5, s10
	v_addc_co_u32_e32 v9, vcc, 0, v9, vcc
	v_cmp_lt_i32_e32 vcc, 1, v10
	s_waitcnt vmcnt(0) lgkmcnt(0)
	v_or_b32_e32 v11, v15, v14
	v_lshl_or_b32 v7, v11, v7, v12
	v_mul_lo_u32 v7, v7, s10
	v_xor_b32_sdwa v7, v7, v7 dst_sel:DWORD dst_unused:UNUSED_PAD src0_sel:BYTE_3 src1_sel:DWORD
	v_mul_lo_u32 v7, v7, s10
	v_xor_b32_e32 v5, v7, v5
	s_mov_b64 s[10:11], 0
	s_and_saveexec_b64 s[12:13], vcc
	s_xor_b64 s[12:13], exec, s[12:13]
	s_cbranch_execz .LBB0_488
; %bb.27:
	v_cmp_eq_u32_e32 vcc, 2, v10
	s_and_saveexec_b64 s[14:15], vcc
	s_cbranch_execz .LBB0_29
; %bb.28:
	flat_load_ubyte v7, v[8:9] offset:1
	s_mov_b64 s[10:11], exec
	s_waitcnt vmcnt(0) lgkmcnt(0)
	v_lshlrev_b32_e32 v7, 8, v7
	v_xor_b32_e32 v5, v7, v5
.LBB0_29:
	s_or_b64 exec, exec, s[14:15]
	s_and_b64 s[10:11], s[10:11], exec
                                        ; implicit-def: $vgpr10
	s_andn2_saveexec_b64 s[12:13], s[12:13]
	s_cbranch_execnz .LBB0_489
.LBB0_30:
	s_or_b64 exec, exec, s[12:13]
	s_and_saveexec_b64 s[12:13], s[10:11]
	s_cbranch_execz .LBB0_32
.LBB0_31:
	flat_load_ubyte v7, v[8:9]
	s_mov_b32 s10, 0x5bd1e995
	s_waitcnt vmcnt(0) lgkmcnt(0)
	v_xor_b32_e32 v5, v5, v7
	v_mul_lo_u32 v5, v5, s10
.LBB0_32:
	s_or_b64 exec, exec, s[12:13]
                                        ; implicit-def: $vgpr10
                                        ; implicit-def: $vgpr12
                                        ; implicit-def: $vgpr7
                                        ; implicit-def: $vgpr13
                                        ; implicit-def: $vgpr8_vgpr9
.LBB0_33:
	s_andn2_saveexec_b64 s[6:7], s[6:7]
	s_cbranch_execz .LBB0_39
; %bb.34:
	v_cmp_lt_i32_e32 vcc, 1, v13
	s_mov_b64 s[10:11], 0
                                        ; implicit-def: $vgpr11
	s_and_saveexec_b64 s[12:13], vcc
	s_xor_b64 s[12:13], exec, s[12:13]
	s_cbranch_execz .LBB0_490
; %bb.35:
	flat_load_ubyte v11, v[8:9] offset:1
	s_mov_b64 s[10:11], exec
                                        ; implicit-def: $vgpr13
	s_waitcnt vmcnt(0) lgkmcnt(0)
	v_lshlrev_b32_e32 v11, 8, v11
	s_andn2_saveexec_b64 s[12:13], s[12:13]
	s_cbranch_execnz .LBB0_491
.LBB0_36:
	s_or_b64 exec, exec, s[12:13]
	s_and_saveexec_b64 s[12:13], s[10:11]
	s_cbranch_execz .LBB0_38
.LBB0_37:
	flat_load_ubyte v8, v[8:9]
	s_waitcnt vmcnt(0) lgkmcnt(0)
	v_or_b32_e32 v13, v11, v8
.LBB0_38:
	s_or_b64 exec, exec, s[12:13]
	v_lshrrev_b32_e32 v8, v10, v12
	v_lshl_or_b32 v7, v13, v7, v8
	v_xor_b32_e32 v5, v7, v5
	s_mov_b32 s10, 0x5bd1e995
	v_mul_lo_u32 v5, v5, s10
.LBB0_39:
	s_or_b64 exec, exec, s[6:7]
.LBB0_40:
	s_or_b64 exec, exec, s[4:5]
	v_cvt_f32_u32_e32 v7, v6
	v_lshrrev_b32_e32 v8, 13, v5
	s_mov_b32 s4, 0x5bd1e995
	v_xor_b32_e32 v5, v8, v5
	v_rcp_iflag_f32_e32 v7, v7
	v_mul_lo_u32 v5, v5, s4
	v_sub_u32_e32 v9, 0, v6
	v_lshrrev_b32_e32 v8, 15, v5
	v_mul_f32_e32 v7, 0x4f7ffffe, v7
	v_cvt_u32_f32_e32 v7, v7
	v_xor_b32_e32 v5, v8, v5
	s_getpc_b64 s[6:7]
	s_add_u32 s6, s6, .str.2@rel32@lo+4
	s_addc_u32 s7, s7, .str.2@rel32@hi+12
	s_cmp_lg_u64 s[6:7], 0
	v_mul_lo_u32 v8, v9, v7
	v_mul_hi_u32 v8, v7, v8
	v_add_u32_e32 v7, v7, v8
	v_mul_hi_u32 v7, v5, v7
	v_mul_lo_u32 v7, v7, v6
	v_sub_u32_e32 v5, v5, v7
	v_sub_u32_e32 v7, v5, v6
	v_cmp_ge_u32_e32 vcc, v5, v6
	v_cndmask_b32_e32 v5, v5, v7, vcc
	v_sub_u32_e32 v7, v5, v6
	v_cmp_ge_u32_e32 vcc, v5, v6
	v_cndmask_b32_e32 v50, v5, v7, vcc
	v_mov_b32_e32 v11, 0
	v_mbcnt_lo_u32_b32 v7, -1, 0
	s_mov_b32 s12, 0
	v_cmp_lt_i32_e64 s[4:5], 0, v4
	s_cselect_b64 s[10:11], -1, 0
	v_mov_b32_e32 v39, 0
	s_movk_i32 s36, 0xff1d
	v_mov_b32_e32 v5, -1
	v_mbcnt_hi_u32_b32 v51, -1, v7
	v_mov_b32_e32 v14, 2
	v_mov_b32_e32 v15, 1
	;; [unrolled: 1-line block ×5, first 2 shown]
                                        ; implicit-def: $vgpr53
	s_branch .LBB0_42
.LBB0_41:                               ;   in Loop: Header=BB0_42 Depth=1
                                        ; implicit-def: $vgpr53
                                        ; implicit-def: $vgpr9
                                        ; implicit-def: $vgpr7
	s_cbranch_execnz .LBB0_483
.LBB0_42:                               ; =>This Loop Header: Depth=1
                                        ;     Child Loop BB0_52 Depth 2
                                        ;     Child Loop BB0_65 Depth 2
	;; [unrolled: 1-line block ×10, first 2 shown]
                                        ;       Child Loop BB0_94 Depth 3
                                        ;       Child Loop BB0_101 Depth 3
	;; [unrolled: 1-line block ×11, first 2 shown]
                                        ;     Child Loop BB0_204 Depth 2
                                        ;     Child Loop BB0_212 Depth 2
	;; [unrolled: 1-line block ×9, first 2 shown]
                                        ;       Child Loop BB0_233 Depth 3
                                        ;       Child Loop BB0_240 Depth 3
	;; [unrolled: 1-line block ×11, first 2 shown]
                                        ;     Child Loop BB0_343 Depth 2
                                        ;     Child Loop BB0_351 Depth 2
	;; [unrolled: 1-line block ×9, first 2 shown]
                                        ;       Child Loop BB0_372 Depth 3
                                        ;       Child Loop BB0_379 Depth 3
	;; [unrolled: 1-line block ×11, first 2 shown]
	v_mov_b32_e32 v10, v9
	;;#ASMSTART
	;;#ASMEND
	v_cmp_ne_u32_e32 vcc, 0, v10
	s_cmp_eq_u64 vcc, exec
	v_mov_b32_e32 v52, v7
	s_cbranch_scc1 .LBB0_41
; %bb.43:                               ;   in Loop: Header=BB0_42 Depth=1
	v_cmp_eq_u32_e32 vcc, 0, v9
	s_and_saveexec_b64 s[16:17], vcc
	s_cbranch_execz .LBB0_47
; %bb.44:                               ;   in Loop: Header=BB0_42 Depth=1
	v_mad_u64_u32 v[12:13], s[6:7], v7, 56, v[0:1]
	flat_atomic_cmpswap v53, v[12:13], v[4:5] offset:8 glc
	s_waitcnt vmcnt(0) lgkmcnt(0)
	v_cmp_eq_u32_e64 s[6:7], -1, v53
	s_and_saveexec_b64 s[18:19], s[6:7]
	s_cbranch_execz .LBB0_46
; %bb.45:                               ;   in Loop: Header=BB0_42 Depth=1
	s_mov_b32 s14, s12
	s_mov_b32 s15, s12
	;; [unrolled: 1-line block ×3, first 2 shown]
	v_pk_mov_b32 v[18:19], s[14:15], s[14:15] op_sel:[0,1]
	v_pk_mov_b32 v[16:17], s[12:13], s[12:13] op_sel:[0,1]
	v_mov_b32_e32 v53, -1
	flat_store_dwordx2 v[12:13], v[2:3]
	flat_store_dwordx4 v[12:13], v[16:19] offset:16
	flat_store_dwordx4 v[12:13], v[16:19] offset:32
	flat_store_dwordx4 v[12:13], v[16:19] offset:40
.LBB0_46:                               ;   in Loop: Header=BB0_42 Depth=1
	s_or_b64 exec, exec, s[18:19]
.LBB0_47:                               ;   in Loop: Header=BB0_42 Depth=1
	s_or_b64 exec, exec, s[16:17]
	s_and_saveexec_b64 s[6:7], vcc
	s_cbranch_execz .LBB0_59
; %bb.48:                               ;   in Loop: Header=BB0_42 Depth=1
	v_cmp_ne_u32_e32 vcc, -1, v53
	v_mov_b32_e32 v9, 1
	s_and_saveexec_b64 s[14:15], vcc
	s_cbranch_execz .LBB0_58
; %bb.49:                               ;   in Loop: Header=BB0_42 Depth=1
	v_mad_u64_u32 v[12:13], s[16:17], v7, 56, v[0:1]
	flat_load_dword v9, v[12:13] offset:8
	s_mov_b64 s[20:21], -1
                                        ; implicit-def: $sgpr18_sgpr19
	s_waitcnt vmcnt(0) lgkmcnt(0)
	v_cmp_ne_u32_e32 vcc, -1, v9
	s_and_b64 s[22:23], vcc, s[4:5]
	s_and_saveexec_b64 s[16:17], s[22:23]
	s_cbranch_execz .LBB0_55
; %bb.50:                               ;   in Loop: Header=BB0_42 Depth=1
	flat_load_dwordx2 v[12:13], v[12:13]
	s_mov_b64 s[18:19], 0
	v_pk_mov_b32 v[16:17], v[2:3], v[2:3] op_sel:[0,1]
	v_mov_b32_e32 v10, v4
                                        ; implicit-def: $sgpr20_sgpr21
                                        ; implicit-def: $sgpr24_sgpr25
                                        ; implicit-def: $sgpr22_sgpr23
	s_branch .LBB0_52
.LBB0_51:                               ;   in Loop: Header=BB0_52 Depth=2
	s_or_b64 exec, exec, s[26:27]
	s_xor_b64 s[26:27], s[22:23], -1
	s_and_b64 s[28:29], exec, s[24:25]
	s_or_b64 s[18:19], s[28:29], s[18:19]
	s_andn2_b64 s[20:21], s[20:21], exec
	s_and_b64 s[26:27], s[26:27], exec
	s_or_b64 s[20:21], s[20:21], s[26:27]
	s_andn2_b64 exec, exec, s[18:19]
	s_cbranch_execz .LBB0_54
.LBB0_52:                               ;   Parent Loop BB0_42 Depth=1
                                        ; =>  This Inner Loop Header: Depth=2
	s_waitcnt vmcnt(0) lgkmcnt(0)
	flat_load_ubyte v18, v[12:13]
	flat_load_ubyte v19, v[16:17]
	s_or_b64 s[22:23], s[22:23], exec
	s_or_b64 s[24:25], s[24:25], exec
	s_waitcnt vmcnt(0) lgkmcnt(0)
	v_cmp_eq_u16_e32 vcc, v18, v19
	s_and_saveexec_b64 s[26:27], vcc
	s_cbranch_execz .LBB0_51
; %bb.53:                               ;   in Loop: Header=BB0_52 Depth=2
	v_add_co_u32_e32 v16, vcc, 1, v16
	v_addc_co_u32_e32 v17, vcc, 0, v17, vcc
	v_add_co_u32_e32 v12, vcc, 1, v12
	v_add_u32_e32 v10, -1, v10
	v_addc_co_u32_e32 v13, vcc, 0, v13, vcc
	v_cmp_eq_u32_e32 vcc, 0, v10
	s_andn2_b64 s[24:25], s[24:25], exec
	s_and_b64 s[28:29], vcc, exec
	s_andn2_b64 s[22:23], s[22:23], exec
	s_or_b64 s[24:25], s[24:25], s[28:29]
	s_branch .LBB0_51
.LBB0_54:                               ;   in Loop: Header=BB0_42 Depth=1
	s_or_b64 exec, exec, s[18:19]
	s_mov_b64 s[18:19], 0
	s_orn2_b64 s[20:21], s[20:21], exec
.LBB0_55:                               ;   in Loop: Header=BB0_42 Depth=1
	s_or_b64 exec, exec, s[16:17]
	s_and_saveexec_b64 s[16:17], s[20:21]
; %bb.56:                               ;   in Loop: Header=BB0_42 Depth=1
	v_cmp_eq_u32_e32 vcc, v9, v4
	s_andn2_b64 s[18:19], s[18:19], exec
	s_and_b64 s[20:21], vcc, exec
	s_or_b64 s[18:19], s[18:19], s[20:21]
; %bb.57:                               ;   in Loop: Header=BB0_42 Depth=1
	s_or_b64 exec, exec, s[16:17]
	v_cndmask_b32_e64 v9, 0, 1, s[18:19]
.LBB0_58:                               ;   in Loop: Header=BB0_42 Depth=1
	s_or_b64 exec, exec, s[14:15]
.LBB0_59:                               ;   in Loop: Header=BB0_42 Depth=1
	s_or_b64 exec, exec, s[6:7]
	v_mov_b32_e32 v10, v9
	;;#ASMSTART
	;;#ASMEND
	v_cmp_ne_u32_e32 vcc, 0, v10
	s_cmp_eq_u64 vcc, exec
	s_cbranch_scc1 .LBB0_41
; %bb.60:                               ;   in Loop: Header=BB0_42 Depth=1
	v_cmp_eq_u32_e32 vcc, 0, v9
	s_and_saveexec_b64 s[6:7], vcc
	s_xor_b64 s[16:17], exec, s[6:7]
	s_cbranch_execz .LBB0_482
; %bb.61:                               ;   in Loop: Header=BB0_42 Depth=1
	v_add_u32_e32 v7, 1, v7
	v_cmp_ne_u32_e32 vcc, v7, v6
	v_cndmask_b32_e32 v7, 0, v7, vcc
	v_mov_b32_e32 v9, 0
	v_cmp_eq_u32_e32 vcc, v7, v50
	s_and_saveexec_b64 s[18:19], vcc
	s_cbranch_execz .LBB0_481
; %bb.62:                               ;   in Loop: Header=BB0_42 Depth=1
	s_load_dwordx2 s[20:21], s[8:9], 0x50
	v_readfirstlane_b32 s6, v51
	v_cmp_eq_u32_e64 s[6:7], s6, v51
	v_pk_mov_b32 v[12:13], 0, 0
	s_and_saveexec_b64 s[14:15], s[6:7]
	s_cbranch_execz .LBB0_68
; %bb.63:                               ;   in Loop: Header=BB0_42 Depth=1
	s_waitcnt lgkmcnt(0)
	global_load_dwordx2 v[18:19], v39, s[20:21] offset:24 glc
	s_waitcnt vmcnt(0)
	buffer_invl2
	buffer_wbinvl1_vol
	global_load_dwordx2 v[12:13], v39, s[20:21] offset:40
	global_load_dwordx2 v[16:17], v39, s[20:21]
	s_waitcnt vmcnt(1)
	v_and_b32_e32 v7, v12, v18
	v_and_b32_e32 v9, v13, v19
	v_mul_lo_u32 v9, v9, 24
	v_mul_hi_u32 v10, v7, 24
	v_mul_lo_u32 v7, v7, 24
	v_add_u32_e32 v9, v10, v9
	s_waitcnt vmcnt(0)
	v_add_co_u32_e32 v12, vcc, v16, v7
	v_addc_co_u32_e32 v13, vcc, v17, v9, vcc
	global_load_dwordx2 v[16:17], v[12:13], off glc
	s_waitcnt vmcnt(0)
	global_atomic_cmpswap_x2 v[12:13], v39, v[16:19], s[20:21] offset:24 glc
	s_waitcnt vmcnt(0)
	buffer_invl2
	buffer_wbinvl1_vol
	v_cmp_ne_u64_e32 vcc, v[12:13], v[18:19]
	s_and_saveexec_b64 s[22:23], vcc
	s_cbranch_execz .LBB0_67
; %bb.64:                               ;   in Loop: Header=BB0_42 Depth=1
	s_mov_b64 s[24:25], 0
.LBB0_65:                               ;   Parent Loop BB0_42 Depth=1
                                        ; =>  This Inner Loop Header: Depth=2
	s_sleep 1
	global_load_dwordx2 v[16:17], v39, s[20:21] offset:40
	global_load_dwordx2 v[20:21], v39, s[20:21]
	v_pk_mov_b32 v[18:19], v[12:13], v[12:13] op_sel:[0,1]
	s_waitcnt vmcnt(1)
	v_and_b32_e32 v9, v16, v18
	s_waitcnt vmcnt(0)
	v_mad_u64_u32 v[12:13], s[26:27], v9, 24, v[20:21]
	v_and_b32_e32 v7, v17, v19
	v_mov_b32_e32 v10, v13
	v_mad_u64_u32 v[16:17], s[26:27], v7, 24, v[10:11]
	v_mov_b32_e32 v13, v16
	global_load_dwordx2 v[16:17], v[12:13], off glc
	s_waitcnt vmcnt(0)
	global_atomic_cmpswap_x2 v[12:13], v39, v[16:19], s[20:21] offset:24 glc
	s_waitcnt vmcnt(0)
	buffer_invl2
	buffer_wbinvl1_vol
	v_cmp_eq_u64_e32 vcc, v[12:13], v[18:19]
	s_or_b64 s[24:25], vcc, s[24:25]
	s_andn2_b64 exec, exec, s[24:25]
	s_cbranch_execnz .LBB0_65
; %bb.66:                               ;   in Loop: Header=BB0_42 Depth=1
	s_or_b64 exec, exec, s[24:25]
.LBB0_67:                               ;   in Loop: Header=BB0_42 Depth=1
	s_or_b64 exec, exec, s[22:23]
.LBB0_68:                               ;   in Loop: Header=BB0_42 Depth=1
	s_or_b64 exec, exec, s[14:15]
	s_waitcnt lgkmcnt(0)
	global_load_dwordx2 v[20:21], v39, s[20:21] offset:40
	global_load_dwordx4 v[16:19], v39, s[20:21]
	v_readfirstlane_b32 s22, v12
	v_readfirstlane_b32 s23, v13
	s_mov_b64 s[14:15], exec
	s_waitcnt vmcnt(0)
	v_readfirstlane_b32 s24, v20
	v_readfirstlane_b32 s25, v21
	s_and_b64 s[24:25], s[22:23], s[24:25]
	s_mul_i32 s13, s25, 24
	s_mul_hi_u32 s26, s24, 24
	s_mul_i32 s27, s24, 24
	s_add_i32 s13, s26, s13
	v_mov_b32_e32 v7, s13
	v_add_co_u32_e32 v20, vcc, s27, v16
	v_addc_co_u32_e32 v21, vcc, v17, v7, vcc
	s_and_saveexec_b64 s[26:27], s[6:7]
	s_cbranch_execz .LBB0_70
; %bb.69:                               ;   in Loop: Header=BB0_42 Depth=1
	v_pk_mov_b32 v[12:13], s[14:15], s[14:15] op_sel:[0,1]
	global_store_dwordx4 v[20:21], v[12:15], off offset:8
.LBB0_70:                               ;   in Loop: Header=BB0_42 Depth=1
	s_or_b64 exec, exec, s[26:27]
	s_lshl_b64 s[14:15], s[24:25], 12
	v_mov_b32_e32 v7, s15
	v_add_co_u32_e32 v12, vcc, s14, v18
	s_mov_b32 s14, s12
	s_mov_b32 s15, s12
	v_addc_co_u32_e32 v7, vcc, v19, v7, vcc
	s_mov_b32 s13, s12
	v_pk_mov_b32 v[24:25], s[14:15], s[14:15] op_sel:[0,1]
	v_lshlrev_b32_e32 v54, 6, v51
	v_mov_b32_e32 v9, v11
	v_mov_b32_e32 v10, v11
	v_readfirstlane_b32 s24, v12
	v_readfirstlane_b32 s25, v7
	v_pk_mov_b32 v[22:23], s[12:13], s[12:13] op_sel:[0,1]
	s_nop 3
	global_store_dwordx4 v54, v[8:11], s[24:25]
	global_store_dwordx4 v54, v[22:25], s[24:25] offset:16
	global_store_dwordx4 v54, v[22:25], s[24:25] offset:32
	global_store_dwordx4 v54, v[22:25], s[24:25] offset:48
	s_and_saveexec_b64 s[14:15], s[6:7]
	s_cbranch_execz .LBB0_78
; %bb.71:                               ;   in Loop: Header=BB0_42 Depth=1
	global_load_dwordx2 v[26:27], v39, s[20:21] offset:32 glc
	global_load_dwordx2 v[18:19], v39, s[20:21] offset:40
	v_mov_b32_e32 v24, s22
	v_mov_b32_e32 v25, s23
	s_waitcnt vmcnt(0)
	v_and_b32_e32 v9, s22, v18
	v_and_b32_e32 v10, s23, v19
	v_mul_lo_u32 v10, v10, 24
	v_mul_hi_u32 v13, v9, 24
	v_mul_lo_u32 v9, v9, 24
	v_add_u32_e32 v10, v13, v10
	v_add_co_u32_e32 v22, vcc, v16, v9
	v_addc_co_u32_e32 v23, vcc, v17, v10, vcc
	global_store_dwordx2 v[22:23], v[26:27], off
	buffer_wbl2
	s_waitcnt vmcnt(0)
	global_atomic_cmpswap_x2 v[18:19], v39, v[24:27], s[20:21] offset:32 glc
	s_waitcnt vmcnt(0)
	v_cmp_ne_u64_e32 vcc, v[18:19], v[26:27]
	s_and_saveexec_b64 s[24:25], vcc
	s_cbranch_execz .LBB0_74
; %bb.72:                               ;   in Loop: Header=BB0_42 Depth=1
	s_mov_b64 s[26:27], 0
.LBB0_73:                               ;   Parent Loop BB0_42 Depth=1
                                        ; =>  This Inner Loop Header: Depth=2
	s_sleep 1
	global_store_dwordx2 v[22:23], v[18:19], off
	v_mov_b32_e32 v16, s22
	v_mov_b32_e32 v17, s23
	buffer_wbl2
	s_waitcnt vmcnt(0)
	global_atomic_cmpswap_x2 v[16:17], v39, v[16:19], s[20:21] offset:32 glc
	s_waitcnt vmcnt(0)
	v_cmp_eq_u64_e32 vcc, v[16:17], v[18:19]
	s_or_b64 s[26:27], vcc, s[26:27]
	v_pk_mov_b32 v[18:19], v[16:17], v[16:17] op_sel:[0,1]
	s_andn2_b64 exec, exec, s[26:27]
	s_cbranch_execnz .LBB0_73
.LBB0_74:                               ;   in Loop: Header=BB0_42 Depth=1
	s_or_b64 exec, exec, s[24:25]
	global_load_dwordx2 v[16:17], v39, s[20:21] offset:16
	s_mov_b64 s[26:27], exec
	v_mbcnt_lo_u32_b32 v9, s26, 0
	v_mbcnt_hi_u32_b32 v9, s27, v9
	v_cmp_eq_u32_e32 vcc, 0, v9
	s_and_saveexec_b64 s[24:25], vcc
	s_cbranch_execz .LBB0_76
; %bb.75:                               ;   in Loop: Header=BB0_42 Depth=1
	s_bcnt1_i32_b64 s13, s[26:27]
	v_mov_b32_e32 v10, s13
	buffer_wbl2
	s_waitcnt vmcnt(0)
	global_atomic_add_x2 v[16:17], v[10:11], off offset:8
.LBB0_76:                               ;   in Loop: Header=BB0_42 Depth=1
	s_or_b64 exec, exec, s[24:25]
	s_waitcnt vmcnt(0)
	global_load_dwordx2 v[18:19], v[16:17], off offset:16
	s_waitcnt vmcnt(0)
	v_cmp_eq_u64_e32 vcc, 0, v[18:19]
	s_cbranch_vccnz .LBB0_78
; %bb.77:                               ;   in Loop: Header=BB0_42 Depth=1
	global_load_dword v38, v[16:17], off offset:24
	s_waitcnt vmcnt(0)
	v_and_b32_e32 v9, 0xffffff, v38
	v_readfirstlane_b32 m0, v9
	buffer_wbl2
	global_store_dwordx2 v[18:19], v[38:39], off
	s_sendmsg sendmsg(MSG_INTERRUPT)
.LBB0_78:                               ;   in Loop: Header=BB0_42 Depth=1
	s_or_b64 exec, exec, s[14:15]
	v_add_co_u32_e32 v12, vcc, v12, v54
	v_addc_co_u32_e32 v13, vcc, 0, v7, vcc
	s_branch .LBB0_80
.LBB0_79:                               ;   in Loop: Header=BB0_42 Depth=1
	s_branch .LBB0_84
.LBB0_80:                               ;   Parent Loop BB0_42 Depth=1
                                        ; =>  This Inner Loop Header: Depth=2
	v_mov_b32_e32 v7, 1
	s_and_saveexec_b64 s[14:15], s[6:7]
	s_cbranch_execz .LBB0_82
; %bb.81:                               ;   in Loop: Header=BB0_80 Depth=2
	global_load_dword v7, v[20:21], off offset:20 glc
	s_waitcnt vmcnt(0)
	buffer_invl2
	buffer_wbinvl1_vol
	v_and_b32_e32 v7, 1, v7
.LBB0_82:                               ;   in Loop: Header=BB0_80 Depth=2
	s_or_b64 exec, exec, s[14:15]
	v_readfirstlane_b32 s13, v7
	s_cmp_eq_u32 s13, 0
	s_cbranch_scc1 .LBB0_79
; %bb.83:                               ;   in Loop: Header=BB0_80 Depth=2
	s_sleep 1
	s_cbranch_execnz .LBB0_80
.LBB0_84:                               ;   in Loop: Header=BB0_42 Depth=1
	global_load_dwordx2 v[16:17], v[12:13], off
	s_and_saveexec_b64 s[14:15], s[6:7]
	s_cbranch_execz .LBB0_88
; %bb.85:                               ;   in Loop: Header=BB0_42 Depth=1
	global_load_dwordx2 v[12:13], v39, s[20:21] offset:40
	global_load_dwordx2 v[22:23], v39, s[20:21] offset:24 glc
	global_load_dwordx2 v[24:25], v39, s[20:21]
	v_mov_b32_e32 v7, s23
	s_waitcnt vmcnt(2)
	v_add_co_u32_e32 v9, vcc, 1, v12
	v_addc_co_u32_e32 v10, vcc, 0, v13, vcc
	v_add_co_u32_e32 v18, vcc, s22, v9
	v_addc_co_u32_e32 v19, vcc, v10, v7, vcc
	v_cmp_eq_u64_e32 vcc, 0, v[18:19]
	v_cndmask_b32_e32 v19, v19, v10, vcc
	v_cndmask_b32_e32 v18, v18, v9, vcc
	v_and_b32_e32 v7, v19, v13
	v_and_b32_e32 v9, v18, v12
	v_mul_lo_u32 v7, v7, 24
	v_mul_hi_u32 v10, v9, 24
	v_mul_lo_u32 v9, v9, 24
	v_add_u32_e32 v7, v10, v7
	s_waitcnt vmcnt(0)
	v_add_co_u32_e32 v12, vcc, v24, v9
	v_addc_co_u32_e32 v13, vcc, v25, v7, vcc
	v_mov_b32_e32 v20, v22
	global_store_dwordx2 v[12:13], v[22:23], off
	v_mov_b32_e32 v21, v23
	buffer_wbl2
	s_waitcnt vmcnt(0)
	global_atomic_cmpswap_x2 v[20:21], v39, v[18:21], s[20:21] offset:24 glc
	s_waitcnt vmcnt(0)
	v_cmp_ne_u64_e32 vcc, v[20:21], v[22:23]
	s_and_b64 exec, exec, vcc
	s_cbranch_execz .LBB0_88
; %bb.86:                               ;   in Loop: Header=BB0_42 Depth=1
	s_mov_b64 s[6:7], 0
.LBB0_87:                               ;   Parent Loop BB0_42 Depth=1
                                        ; =>  This Inner Loop Header: Depth=2
	s_sleep 1
	global_store_dwordx2 v[12:13], v[20:21], off
	buffer_wbl2
	s_waitcnt vmcnt(0)
	global_atomic_cmpswap_x2 v[22:23], v39, v[18:21], s[20:21] offset:24 glc
	s_waitcnt vmcnt(0)
	v_cmp_eq_u64_e32 vcc, v[22:23], v[20:21]
	s_or_b64 s[6:7], vcc, s[6:7]
	v_pk_mov_b32 v[20:21], v[22:23], v[22:23] op_sel:[0,1]
	s_andn2_b64 exec, exec, s[6:7]
	s_cbranch_execnz .LBB0_87
.LBB0_88:                               ;   in Loop: Header=BB0_42 Depth=1
	s_or_b64 exec, exec, s[14:15]
	s_and_b64 vcc, exec, s[10:11]
	s_cbranch_vccz .LBB0_173
; %bb.89:                               ;   in Loop: Header=BB0_42 Depth=1
	s_waitcnt vmcnt(0)
	v_and_b32_e32 v18, -3, v16
	v_mov_b32_e32 v19, v17
	s_mov_b64 s[22:23], 39
	s_getpc_b64 s[14:15]
	s_add_u32 s14, s14, .str.2@rel32@lo+4
	s_addc_u32 s15, s15, .str.2@rel32@hi+12
	s_branch .LBB0_91
.LBB0_90:                               ;   in Loop: Header=BB0_91 Depth=2
	s_or_b64 exec, exec, s[28:29]
	s_sub_u32 s22, s22, s24
	s_subb_u32 s23, s23, s25
	s_add_u32 s14, s14, s24
	s_addc_u32 s15, s15, s25
	s_cmp_lg_u64 s[22:23], 0
	s_cbranch_scc0 .LBB0_172
.LBB0_91:                               ;   Parent Loop BB0_42 Depth=1
                                        ; =>  This Loop Header: Depth=2
                                        ;       Child Loop BB0_94 Depth 3
                                        ;       Child Loop BB0_101 Depth 3
	;; [unrolled: 1-line block ×11, first 2 shown]
	v_cmp_lt_u64_e64 s[6:7], s[22:23], 56
	s_and_b64 s[6:7], s[6:7], exec
	v_cmp_gt_u64_e64 s[6:7], s[22:23], 7
	s_cselect_b32 s25, s23, 0
	s_cselect_b32 s24, s22, 56
	s_and_b64 vcc, exec, s[6:7]
	s_cbranch_vccnz .LBB0_96
; %bb.92:                               ;   in Loop: Header=BB0_91 Depth=2
	s_mov_b64 s[6:7], 0
	s_cmp_eq_u64 s[22:23], 0
	s_waitcnt vmcnt(0)
	v_pk_mov_b32 v[20:21], 0, 0
	s_cbranch_scc1 .LBB0_95
; %bb.93:                               ;   in Loop: Header=BB0_91 Depth=2
	s_lshl_b64 s[26:27], s[24:25], 3
	s_mov_b64 s[28:29], 0
	v_pk_mov_b32 v[20:21], 0, 0
	s_mov_b64 vcc, s[14:15]
.LBB0_94:                               ;   Parent Loop BB0_42 Depth=1
                                        ;     Parent Loop BB0_91 Depth=2
                                        ; =>    This Inner Loop Header: Depth=3
	global_load_ubyte v7, v39, vcc
	s_waitcnt vmcnt(0)
	v_and_b32_e32 v38, 0xffff, v7
	v_lshlrev_b64 v[12:13], s28, v[38:39]
	s_add_u32 s28, s28, 8
	s_addc_u32 s29, s29, 0
	s_add_u32 vcc_lo, vcc_lo, 1
	s_addc_u32 vcc_hi, vcc_hi, 0
	v_or_b32_e32 v20, v12, v20
	s_cmp_lg_u32 s26, s28
	v_or_b32_e32 v21, v13, v21
	s_cbranch_scc1 .LBB0_94
.LBB0_95:                               ;   in Loop: Header=BB0_91 Depth=2
	s_mov_b32 s13, 0
	s_andn2_b64 vcc, exec, s[6:7]
	s_mov_b64 s[6:7], s[14:15]
	s_cbranch_vccz .LBB0_97
	s_branch .LBB0_98
.LBB0_96:                               ;   in Loop: Header=BB0_91 Depth=2
                                        ; implicit-def: $sgpr13
	s_mov_b64 s[6:7], s[14:15]
.LBB0_97:                               ;   in Loop: Header=BB0_91 Depth=2
	global_load_dwordx2 v[20:21], v39, s[14:15]
	s_add_i32 s13, s24, -8
	s_add_u32 s6, s14, 8
	s_addc_u32 s7, s15, 0
.LBB0_98:                               ;   in Loop: Header=BB0_91 Depth=2
	s_cmp_gt_u32 s13, 7
	s_cbranch_scc1 .LBB0_160
; %bb.99:                               ;   in Loop: Header=BB0_91 Depth=2
	s_cmp_eq_u32 s13, 0
	s_cbranch_scc1 .LBB0_166
; %bb.100:                              ;   in Loop: Header=BB0_91 Depth=2
	s_mov_b64 s[26:27], 0
	v_pk_mov_b32 v[22:23], 0, 0
	s_mov_b64 s[28:29], 0
.LBB0_101:                              ;   Parent Loop BB0_42 Depth=1
                                        ;     Parent Loop BB0_91 Depth=2
                                        ; =>    This Inner Loop Header: Depth=3
	s_add_u32 vcc_lo, s6, s28
	s_addc_u32 vcc_hi, s7, s29
	global_load_ubyte v7, v39, vcc
	s_add_u32 s28, s28, 1
	s_addc_u32 s29, s29, 0
	s_waitcnt vmcnt(0)
	v_and_b32_e32 v38, 0xffff, v7
	v_lshlrev_b64 v[12:13], s26, v[38:39]
	s_add_u32 s26, s26, 8
	s_addc_u32 s27, s27, 0
	v_or_b32_e32 v22, v12, v22
	s_cmp_lg_u32 s13, s28
	v_or_b32_e32 v23, v13, v23
	s_cbranch_scc1 .LBB0_101
; %bb.102:                              ;   in Loop: Header=BB0_91 Depth=2
	s_mov_b32 s30, 0
	s_cbranch_execnz .LBB0_104
.LBB0_103:                              ;   in Loop: Header=BB0_91 Depth=2
	global_load_dwordx2 v[22:23], v39, s[6:7]
	s_add_i32 s30, s13, -8
	s_add_u32 s6, s6, 8
	s_addc_u32 s7, s7, 0
.LBB0_104:                              ;   in Loop: Header=BB0_91 Depth=2
	s_cmp_gt_u32 s30, 7
	s_cbranch_scc1 .LBB0_161
; %bb.105:                              ;   in Loop: Header=BB0_91 Depth=2
	s_cmp_eq_u32 s30, 0
	s_cbranch_scc1 .LBB0_167
; %bb.106:                              ;   in Loop: Header=BB0_91 Depth=2
	s_mov_b64 s[26:27], 0
	v_pk_mov_b32 v[24:25], 0, 0
	s_mov_b64 s[28:29], 0
.LBB0_107:                              ;   Parent Loop BB0_42 Depth=1
                                        ;     Parent Loop BB0_91 Depth=2
                                        ; =>    This Inner Loop Header: Depth=3
	s_add_u32 vcc_lo, s6, s28
	s_addc_u32 vcc_hi, s7, s29
	global_load_ubyte v7, v39, vcc
	s_add_u32 s28, s28, 1
	s_addc_u32 s29, s29, 0
	s_waitcnt vmcnt(0)
	v_and_b32_e32 v38, 0xffff, v7
	v_lshlrev_b64 v[12:13], s26, v[38:39]
	s_add_u32 s26, s26, 8
	s_addc_u32 s27, s27, 0
	v_or_b32_e32 v24, v12, v24
	s_cmp_lg_u32 s30, s28
	v_or_b32_e32 v25, v13, v25
	s_cbranch_scc1 .LBB0_107
; %bb.108:                              ;   in Loop: Header=BB0_91 Depth=2
	s_mov_b32 s13, 0
	s_cbranch_execnz .LBB0_110
.LBB0_109:                              ;   in Loop: Header=BB0_91 Depth=2
	global_load_dwordx2 v[24:25], v39, s[6:7]
	s_add_i32 s13, s30, -8
	s_add_u32 s6, s6, 8
	s_addc_u32 s7, s7, 0
.LBB0_110:                              ;   in Loop: Header=BB0_91 Depth=2
	s_cmp_gt_u32 s13, 7
	s_cbranch_scc1 .LBB0_162
; %bb.111:                              ;   in Loop: Header=BB0_91 Depth=2
	s_cmp_eq_u32 s13, 0
	s_cbranch_scc1 .LBB0_168
; %bb.112:                              ;   in Loop: Header=BB0_91 Depth=2
	s_mov_b64 s[26:27], 0
	v_pk_mov_b32 v[26:27], 0, 0
	s_mov_b64 s[28:29], 0
.LBB0_113:                              ;   Parent Loop BB0_42 Depth=1
                                        ;     Parent Loop BB0_91 Depth=2
                                        ; =>    This Inner Loop Header: Depth=3
	s_add_u32 vcc_lo, s6, s28
	s_addc_u32 vcc_hi, s7, s29
	global_load_ubyte v7, v39, vcc
	s_add_u32 s28, s28, 1
	s_addc_u32 s29, s29, 0
	s_waitcnt vmcnt(0)
	v_and_b32_e32 v38, 0xffff, v7
	v_lshlrev_b64 v[12:13], s26, v[38:39]
	s_add_u32 s26, s26, 8
	s_addc_u32 s27, s27, 0
	v_or_b32_e32 v26, v12, v26
	s_cmp_lg_u32 s13, s28
	v_or_b32_e32 v27, v13, v27
	s_cbranch_scc1 .LBB0_113
; %bb.114:                              ;   in Loop: Header=BB0_91 Depth=2
	s_mov_b32 s30, 0
	s_cbranch_execnz .LBB0_116
.LBB0_115:                              ;   in Loop: Header=BB0_91 Depth=2
	global_load_dwordx2 v[26:27], v39, s[6:7]
	s_add_i32 s30, s13, -8
	s_add_u32 s6, s6, 8
	s_addc_u32 s7, s7, 0
.LBB0_116:                              ;   in Loop: Header=BB0_91 Depth=2
	s_cmp_gt_u32 s30, 7
	s_cbranch_scc1 .LBB0_163
; %bb.117:                              ;   in Loop: Header=BB0_91 Depth=2
	s_cmp_eq_u32 s30, 0
	s_cbranch_scc1 .LBB0_169
; %bb.118:                              ;   in Loop: Header=BB0_91 Depth=2
	s_mov_b64 s[26:27], 0
	v_pk_mov_b32 v[28:29], 0, 0
	s_mov_b64 s[28:29], 0
.LBB0_119:                              ;   Parent Loop BB0_42 Depth=1
                                        ;     Parent Loop BB0_91 Depth=2
                                        ; =>    This Inner Loop Header: Depth=3
	s_add_u32 vcc_lo, s6, s28
	s_addc_u32 vcc_hi, s7, s29
	global_load_ubyte v7, v39, vcc
	s_add_u32 s28, s28, 1
	s_addc_u32 s29, s29, 0
	s_waitcnt vmcnt(0)
	v_and_b32_e32 v38, 0xffff, v7
	v_lshlrev_b64 v[12:13], s26, v[38:39]
	s_add_u32 s26, s26, 8
	s_addc_u32 s27, s27, 0
	v_or_b32_e32 v28, v12, v28
	s_cmp_lg_u32 s30, s28
	v_or_b32_e32 v29, v13, v29
	s_cbranch_scc1 .LBB0_119
; %bb.120:                              ;   in Loop: Header=BB0_91 Depth=2
	s_mov_b32 s13, 0
	s_cbranch_execnz .LBB0_122
.LBB0_121:                              ;   in Loop: Header=BB0_91 Depth=2
	global_load_dwordx2 v[28:29], v39, s[6:7]
	s_add_i32 s13, s30, -8
	s_add_u32 s6, s6, 8
	s_addc_u32 s7, s7, 0
.LBB0_122:                              ;   in Loop: Header=BB0_91 Depth=2
	s_cmp_gt_u32 s13, 7
	s_cbranch_scc1 .LBB0_164
; %bb.123:                              ;   in Loop: Header=BB0_91 Depth=2
	s_cmp_eq_u32 s13, 0
	s_cbranch_scc1 .LBB0_170
; %bb.124:                              ;   in Loop: Header=BB0_91 Depth=2
	s_mov_b64 s[26:27], 0
	v_pk_mov_b32 v[30:31], 0, 0
	s_mov_b64 s[28:29], 0
.LBB0_125:                              ;   Parent Loop BB0_42 Depth=1
                                        ;     Parent Loop BB0_91 Depth=2
                                        ; =>    This Inner Loop Header: Depth=3
	s_add_u32 vcc_lo, s6, s28
	s_addc_u32 vcc_hi, s7, s29
	global_load_ubyte v7, v39, vcc
	s_add_u32 s28, s28, 1
	s_addc_u32 s29, s29, 0
	s_waitcnt vmcnt(0)
	v_and_b32_e32 v38, 0xffff, v7
	v_lshlrev_b64 v[12:13], s26, v[38:39]
	s_add_u32 s26, s26, 8
	s_addc_u32 s27, s27, 0
	v_or_b32_e32 v30, v12, v30
	s_cmp_lg_u32 s13, s28
	v_or_b32_e32 v31, v13, v31
	s_cbranch_scc1 .LBB0_125
; %bb.126:                              ;   in Loop: Header=BB0_91 Depth=2
	s_mov_b32 s30, 0
	s_cbranch_execnz .LBB0_128
.LBB0_127:                              ;   in Loop: Header=BB0_91 Depth=2
	global_load_dwordx2 v[30:31], v39, s[6:7]
	s_add_i32 s30, s13, -8
	s_add_u32 s6, s6, 8
	s_addc_u32 s7, s7, 0
.LBB0_128:                              ;   in Loop: Header=BB0_91 Depth=2
	s_cmp_gt_u32 s30, 7
	s_cbranch_scc1 .LBB0_165
; %bb.129:                              ;   in Loop: Header=BB0_91 Depth=2
	s_cmp_eq_u32 s30, 0
	s_cbranch_scc1 .LBB0_171
; %bb.130:                              ;   in Loop: Header=BB0_91 Depth=2
	s_mov_b64 s[26:27], 0
	v_pk_mov_b32 v[32:33], 0, 0
	s_mov_b64 s[28:29], s[6:7]
.LBB0_131:                              ;   Parent Loop BB0_42 Depth=1
                                        ;     Parent Loop BB0_91 Depth=2
                                        ; =>    This Inner Loop Header: Depth=3
	global_load_ubyte v7, v39, s[28:29]
	s_add_i32 s30, s30, -1
	s_waitcnt vmcnt(0)
	v_and_b32_e32 v38, 0xffff, v7
	v_lshlrev_b64 v[12:13], s26, v[38:39]
	s_add_u32 s26, s26, 8
	s_addc_u32 s27, s27, 0
	s_add_u32 s28, s28, 1
	s_addc_u32 s29, s29, 0
	v_or_b32_e32 v32, v12, v32
	s_cmp_lg_u32 s30, 0
	v_or_b32_e32 v33, v13, v33
	s_cbranch_scc1 .LBB0_131
; %bb.132:                              ;   in Loop: Header=BB0_91 Depth=2
	s_cbranch_execnz .LBB0_134
.LBB0_133:                              ;   in Loop: Header=BB0_91 Depth=2
	global_load_dwordx2 v[32:33], v39, s[6:7]
.LBB0_134:                              ;   in Loop: Header=BB0_91 Depth=2
	v_readfirstlane_b32 s6, v51
	v_cmp_eq_u32_e64 s[6:7], s6, v51
	v_pk_mov_b32 v[12:13], 0, 0
	s_and_saveexec_b64 s[26:27], s[6:7]
	s_cbranch_execz .LBB0_140
; %bb.135:                              ;   in Loop: Header=BB0_91 Depth=2
	global_load_dwordx2 v[36:37], v39, s[20:21] offset:24 glc
	s_waitcnt vmcnt(0)
	buffer_invl2
	buffer_wbinvl1_vol
	global_load_dwordx2 v[12:13], v39, s[20:21] offset:40
	global_load_dwordx2 v[34:35], v39, s[20:21]
	s_waitcnt vmcnt(1)
	v_and_b32_e32 v7, v12, v36
	v_and_b32_e32 v9, v13, v37
	v_mul_lo_u32 v9, v9, 24
	v_mul_hi_u32 v10, v7, 24
	v_mul_lo_u32 v7, v7, 24
	v_add_u32_e32 v9, v10, v9
	s_waitcnt vmcnt(0)
	v_add_co_u32_e32 v12, vcc, v34, v7
	v_addc_co_u32_e32 v13, vcc, v35, v9, vcc
	global_load_dwordx2 v[34:35], v[12:13], off glc
	s_waitcnt vmcnt(0)
	global_atomic_cmpswap_x2 v[12:13], v39, v[34:37], s[20:21] offset:24 glc
	s_waitcnt vmcnt(0)
	buffer_invl2
	buffer_wbinvl1_vol
	v_cmp_ne_u64_e32 vcc, v[12:13], v[36:37]
	s_and_saveexec_b64 s[28:29], vcc
	s_cbranch_execz .LBB0_139
; %bb.136:                              ;   in Loop: Header=BB0_91 Depth=2
	s_mov_b64 s[30:31], 0
.LBB0_137:                              ;   Parent Loop BB0_42 Depth=1
                                        ;     Parent Loop BB0_91 Depth=2
                                        ; =>    This Inner Loop Header: Depth=3
	s_sleep 1
	global_load_dwordx2 v[34:35], v39, s[20:21] offset:40
	global_load_dwordx2 v[48:49], v39, s[20:21]
	v_pk_mov_b32 v[36:37], v[12:13], v[12:13] op_sel:[0,1]
	s_waitcnt vmcnt(1)
	v_and_b32_e32 v9, v34, v36
	s_waitcnt vmcnt(0)
	v_mad_u64_u32 v[12:13], vcc, v9, 24, v[48:49]
	v_and_b32_e32 v7, v35, v37
	v_mov_b32_e32 v10, v13
	v_mad_u64_u32 v[34:35], vcc, v7, 24, v[10:11]
	v_mov_b32_e32 v13, v34
	global_load_dwordx2 v[34:35], v[12:13], off glc
	s_waitcnt vmcnt(0)
	global_atomic_cmpswap_x2 v[12:13], v39, v[34:37], s[20:21] offset:24 glc
	s_waitcnt vmcnt(0)
	buffer_invl2
	buffer_wbinvl1_vol
	v_cmp_eq_u64_e32 vcc, v[12:13], v[36:37]
	s_or_b64 s[30:31], vcc, s[30:31]
	s_andn2_b64 exec, exec, s[30:31]
	s_cbranch_execnz .LBB0_137
; %bb.138:                              ;   in Loop: Header=BB0_91 Depth=2
	s_or_b64 exec, exec, s[30:31]
.LBB0_139:                              ;   in Loop: Header=BB0_91 Depth=2
	s_or_b64 exec, exec, s[28:29]
.LBB0_140:                              ;   in Loop: Header=BB0_91 Depth=2
	s_or_b64 exec, exec, s[26:27]
	global_load_dwordx2 v[48:49], v39, s[20:21] offset:40
	global_load_dwordx4 v[34:37], v39, s[20:21]
	v_readfirstlane_b32 s26, v12
	v_readfirstlane_b32 s27, v13
	s_mov_b64 s[28:29], exec
	s_waitcnt vmcnt(1)
	v_readfirstlane_b32 vcc_lo, v48
	v_readfirstlane_b32 vcc_hi, v49
	s_and_b64 s[30:31], s[26:27], vcc
	s_mul_i32 s13, s31, 24
	s_mul_hi_u32 vcc_lo, s30, 24
	s_mul_i32 vcc_hi, s30, 24
	s_add_i32 s13, vcc_lo, s13
	v_mov_b32_e32 v7, s13
	s_waitcnt vmcnt(0)
	v_add_co_u32_e32 v48, vcc, vcc_hi, v34
	v_addc_co_u32_e32 v49, vcc, v35, v7, vcc
	s_and_saveexec_b64 vcc, s[6:7]
	s_cbranch_execz .LBB0_142
; %bb.141:                              ;   in Loop: Header=BB0_91 Depth=2
	v_pk_mov_b32 v[12:13], s[28:29], s[28:29] op_sel:[0,1]
	global_store_dwordx4 v[48:49], v[12:15], off offset:8
.LBB0_142:                              ;   in Loop: Header=BB0_91 Depth=2
	s_or_b64 exec, exec, vcc
	s_lshl_b64 s[28:29], s[30:31], 12
	v_mov_b32_e32 v7, s29
	v_add_co_u32_e32 v12, vcc, s28, v36
	v_addc_co_u32_e32 v7, vcc, v37, v7, vcc
	v_or_b32_e32 v9, 2, v18
	v_cmp_gt_u64_e64 vcc, s[22:23], 56
	s_lshl_b32 s13, s24, 2
	v_cndmask_b32_e32 v9, v9, v18, vcc
	s_add_i32 s13, s13, 28
	s_and_b32 s13, s13, 0x1e0
	v_and_b32_e32 v9, 0xffffff1f, v9
	v_or_b32_e32 v18, s13, v9
	v_readfirstlane_b32 s28, v12
	v_readfirstlane_b32 s29, v7
	s_nop 4
	global_store_dwordx4 v54, v[18:21], s[28:29]
	global_store_dwordx4 v54, v[22:25], s[28:29] offset:16
	global_store_dwordx4 v54, v[26:29], s[28:29] offset:32
	;; [unrolled: 1-line block ×3, first 2 shown]
	s_and_saveexec_b64 s[28:29], s[6:7]
	s_cbranch_execz .LBB0_150
; %bb.143:                              ;   in Loop: Header=BB0_91 Depth=2
	global_load_dwordx2 v[26:27], v39, s[20:21] offset:32 glc
	global_load_dwordx2 v[18:19], v39, s[20:21] offset:40
	v_mov_b32_e32 v24, s26
	v_mov_b32_e32 v25, s27
	s_waitcnt vmcnt(0)
	v_readfirstlane_b32 vcc_lo, v18
	v_readfirstlane_b32 vcc_hi, v19
	s_and_b64 vcc, vcc, s[26:27]
	s_mul_i32 s13, vcc_hi, 24
	s_mul_hi_u32 vcc_hi, vcc_lo, 24
	s_mul_i32 vcc_lo, vcc_lo, 24
	s_add_i32 s13, vcc_hi, s13
	v_mov_b32_e32 v9, s13
	v_add_co_u32_e32 v22, vcc, vcc_lo, v34
	v_addc_co_u32_e32 v23, vcc, v35, v9, vcc
	global_store_dwordx2 v[22:23], v[26:27], off
	buffer_wbl2
	s_waitcnt vmcnt(0)
	global_atomic_cmpswap_x2 v[20:21], v39, v[24:27], s[20:21] offset:32 glc
	s_waitcnt vmcnt(0)
	v_cmp_ne_u64_e32 vcc, v[20:21], v[26:27]
	s_and_saveexec_b64 s[30:31], vcc
	s_cbranch_execz .LBB0_146
; %bb.144:                              ;   in Loop: Header=BB0_91 Depth=2
	s_mov_b64 s[34:35], 0
.LBB0_145:                              ;   Parent Loop BB0_42 Depth=1
                                        ;     Parent Loop BB0_91 Depth=2
                                        ; =>    This Inner Loop Header: Depth=3
	s_sleep 1
	global_store_dwordx2 v[22:23], v[20:21], off
	v_mov_b32_e32 v18, s26
	v_mov_b32_e32 v19, s27
	buffer_wbl2
	s_waitcnt vmcnt(0)
	global_atomic_cmpswap_x2 v[18:19], v39, v[18:21], s[20:21] offset:32 glc
	s_waitcnt vmcnt(0)
	v_cmp_eq_u64_e32 vcc, v[18:19], v[20:21]
	s_or_b64 s[34:35], vcc, s[34:35]
	v_pk_mov_b32 v[20:21], v[18:19], v[18:19] op_sel:[0,1]
	s_andn2_b64 exec, exec, s[34:35]
	s_cbranch_execnz .LBB0_145
.LBB0_146:                              ;   in Loop: Header=BB0_91 Depth=2
	s_or_b64 exec, exec, s[30:31]
	global_load_dwordx2 v[18:19], v39, s[20:21] offset:16
	s_mov_b64 s[34:35], exec
	v_mbcnt_lo_u32_b32 v9, s34, 0
	v_mbcnt_hi_u32_b32 v9, s35, v9
	v_cmp_eq_u32_e32 vcc, 0, v9
	s_and_saveexec_b64 s[30:31], vcc
	s_cbranch_execz .LBB0_148
; %bb.147:                              ;   in Loop: Header=BB0_91 Depth=2
	s_bcnt1_i32_b64 s13, s[34:35]
	v_mov_b32_e32 v10, s13
	buffer_wbl2
	s_waitcnt vmcnt(0)
	global_atomic_add_x2 v[18:19], v[10:11], off offset:8
.LBB0_148:                              ;   in Loop: Header=BB0_91 Depth=2
	s_or_b64 exec, exec, s[30:31]
	s_waitcnt vmcnt(0)
	global_load_dwordx2 v[20:21], v[18:19], off offset:16
	s_waitcnt vmcnt(0)
	v_cmp_eq_u64_e32 vcc, 0, v[20:21]
	s_cbranch_vccnz .LBB0_150
; %bb.149:                              ;   in Loop: Header=BB0_91 Depth=2
	global_load_dword v38, v[18:19], off offset:24
	s_waitcnt vmcnt(0)
	v_and_b32_e32 v9, 0xffffff, v38
	v_readfirstlane_b32 m0, v9
	buffer_wbl2
	global_store_dwordx2 v[20:21], v[38:39], off
	s_sendmsg sendmsg(MSG_INTERRUPT)
.LBB0_150:                              ;   in Loop: Header=BB0_91 Depth=2
	s_or_b64 exec, exec, s[28:29]
	v_add_co_u32_e32 v12, vcc, v12, v54
	v_addc_co_u32_e32 v13, vcc, 0, v7, vcc
	s_branch .LBB0_152
.LBB0_151:                              ;   in Loop: Header=BB0_91 Depth=2
	s_branch .LBB0_156
.LBB0_152:                              ;   Parent Loop BB0_42 Depth=1
                                        ;     Parent Loop BB0_91 Depth=2
                                        ; =>    This Inner Loop Header: Depth=3
	v_mov_b32_e32 v7, 1
	s_and_saveexec_b64 s[28:29], s[6:7]
	s_cbranch_execz .LBB0_154
; %bb.153:                              ;   in Loop: Header=BB0_152 Depth=3
	global_load_dword v7, v[48:49], off offset:20 glc
	s_waitcnt vmcnt(0)
	buffer_invl2
	buffer_wbinvl1_vol
	v_and_b32_e32 v7, 1, v7
.LBB0_154:                              ;   in Loop: Header=BB0_152 Depth=3
	s_or_b64 exec, exec, s[28:29]
	v_readfirstlane_b32 s13, v7
	s_cmp_eq_u32 s13, 0
	s_cbranch_scc1 .LBB0_151
; %bb.155:                              ;   in Loop: Header=BB0_152 Depth=3
	s_sleep 1
	s_cbranch_execnz .LBB0_152
.LBB0_156:                              ;   in Loop: Header=BB0_91 Depth=2
	global_load_dwordx4 v[18:21], v[12:13], off
	s_and_saveexec_b64 s[28:29], s[6:7]
	s_cbranch_execz .LBB0_90
; %bb.157:                              ;   in Loop: Header=BB0_91 Depth=2
	global_load_dwordx2 v[12:13], v39, s[20:21] offset:40
	global_load_dwordx2 v[24:25], v39, s[20:21] offset:24 glc
	global_load_dwordx2 v[26:27], v39, s[20:21]
	v_mov_b32_e32 v7, s27
	s_waitcnt vmcnt(2)
	v_add_co_u32_e32 v9, vcc, 1, v12
	v_addc_co_u32_e32 v10, vcc, 0, v13, vcc
	v_add_co_u32_e32 v20, vcc, s26, v9
	v_addc_co_u32_e32 v21, vcc, v10, v7, vcc
	v_cmp_eq_u64_e32 vcc, 0, v[20:21]
	v_cndmask_b32_e32 v21, v21, v10, vcc
	v_cndmask_b32_e32 v20, v20, v9, vcc
	v_and_b32_e32 v7, v21, v13
	v_and_b32_e32 v9, v20, v12
	v_mul_lo_u32 v7, v7, 24
	v_mul_hi_u32 v10, v9, 24
	v_mul_lo_u32 v9, v9, 24
	v_add_u32_e32 v7, v10, v7
	s_waitcnt vmcnt(0)
	v_add_co_u32_e32 v12, vcc, v26, v9
	v_addc_co_u32_e32 v13, vcc, v27, v7, vcc
	v_mov_b32_e32 v22, v24
	global_store_dwordx2 v[12:13], v[24:25], off
	v_mov_b32_e32 v23, v25
	buffer_wbl2
	s_waitcnt vmcnt(0)
	global_atomic_cmpswap_x2 v[22:23], v39, v[20:23], s[20:21] offset:24 glc
	s_waitcnt vmcnt(0)
	v_cmp_ne_u64_e32 vcc, v[22:23], v[24:25]
	s_and_b64 exec, exec, vcc
	s_cbranch_execz .LBB0_90
; %bb.158:                              ;   in Loop: Header=BB0_91 Depth=2
	s_mov_b64 s[6:7], 0
.LBB0_159:                              ;   Parent Loop BB0_42 Depth=1
                                        ;     Parent Loop BB0_91 Depth=2
                                        ; =>    This Inner Loop Header: Depth=3
	s_sleep 1
	global_store_dwordx2 v[12:13], v[22:23], off
	buffer_wbl2
	s_waitcnt vmcnt(0)
	global_atomic_cmpswap_x2 v[24:25], v39, v[20:23], s[20:21] offset:24 glc
	s_waitcnt vmcnt(0)
	v_cmp_eq_u64_e32 vcc, v[24:25], v[22:23]
	s_or_b64 s[6:7], vcc, s[6:7]
	v_pk_mov_b32 v[22:23], v[24:25], v[24:25] op_sel:[0,1]
	s_andn2_b64 exec, exec, s[6:7]
	s_cbranch_execnz .LBB0_159
	s_branch .LBB0_90
.LBB0_160:                              ;   in Loop: Header=BB0_91 Depth=2
                                        ; implicit-def: $vgpr22_vgpr23
                                        ; implicit-def: $sgpr30
	s_branch .LBB0_103
.LBB0_161:                              ;   in Loop: Header=BB0_91 Depth=2
                                        ; implicit-def: $sgpr13
	s_branch .LBB0_109
.LBB0_162:                              ;   in Loop: Header=BB0_91 Depth=2
                                        ; implicit-def: $vgpr26_vgpr27
                                        ; implicit-def: $sgpr30
	s_branch .LBB0_115
.LBB0_163:                              ;   in Loop: Header=BB0_91 Depth=2
                                        ; implicit-def: $sgpr13
	s_branch .LBB0_121
.LBB0_164:                              ;   in Loop: Header=BB0_91 Depth=2
                                        ; implicit-def: $vgpr30_vgpr31
                                        ; implicit-def: $sgpr30
	s_branch .LBB0_127
.LBB0_165:                              ;   in Loop: Header=BB0_91 Depth=2
	s_branch .LBB0_133
.LBB0_166:                              ;   in Loop: Header=BB0_91 Depth=2
	v_pk_mov_b32 v[22:23], 0, 0
	s_mov_b32 s30, 0
	s_cbranch_execnz .LBB0_104
	s_branch .LBB0_103
.LBB0_167:                              ;   in Loop: Header=BB0_91 Depth=2
	v_pk_mov_b32 v[24:25], 0, 0
	s_mov_b32 s13, 0
	s_cbranch_execnz .LBB0_110
	s_branch .LBB0_109
.LBB0_168:                              ;   in Loop: Header=BB0_91 Depth=2
	v_pk_mov_b32 v[26:27], 0, 0
	s_mov_b32 s30, 0
	s_cbranch_execnz .LBB0_116
	s_branch .LBB0_115
.LBB0_169:                              ;   in Loop: Header=BB0_91 Depth=2
	v_pk_mov_b32 v[28:29], 0, 0
	s_mov_b32 s13, 0
	s_cbranch_execnz .LBB0_122
	s_branch .LBB0_121
.LBB0_170:                              ;   in Loop: Header=BB0_91 Depth=2
	v_pk_mov_b32 v[30:31], 0, 0
	s_mov_b32 s30, 0
	s_cbranch_execnz .LBB0_128
	s_branch .LBB0_127
.LBB0_171:                              ;   in Loop: Header=BB0_91 Depth=2
	v_pk_mov_b32 v[32:33], 0, 0
	s_cbranch_execnz .LBB0_134
	s_branch .LBB0_133
.LBB0_172:                              ;   in Loop: Header=BB0_42 Depth=1
	s_branch .LBB0_201
.LBB0_173:                              ;   in Loop: Header=BB0_42 Depth=1
	s_cbranch_execz .LBB0_201
; %bb.174:                              ;   in Loop: Header=BB0_42 Depth=1
	v_readfirstlane_b32 s6, v51
	v_cmp_eq_u32_e64 s[6:7], s6, v51
	v_pk_mov_b32 v[12:13], 0, 0
	s_and_saveexec_b64 s[14:15], s[6:7]
	s_cbranch_execz .LBB0_180
; %bb.175:                              ;   in Loop: Header=BB0_42 Depth=1
	global_load_dwordx2 v[20:21], v39, s[20:21] offset:24 glc
	s_waitcnt vmcnt(0)
	buffer_invl2
	buffer_wbinvl1_vol
	global_load_dwordx2 v[12:13], v39, s[20:21] offset:40
	global_load_dwordx2 v[18:19], v39, s[20:21]
	s_waitcnt vmcnt(1)
	v_and_b32_e32 v7, v12, v20
	v_and_b32_e32 v9, v13, v21
	v_mul_lo_u32 v9, v9, 24
	v_mul_hi_u32 v10, v7, 24
	v_mul_lo_u32 v7, v7, 24
	v_add_u32_e32 v9, v10, v9
	s_waitcnt vmcnt(0)
	v_add_co_u32_e32 v12, vcc, v18, v7
	v_addc_co_u32_e32 v13, vcc, v19, v9, vcc
	global_load_dwordx2 v[18:19], v[12:13], off glc
	s_waitcnt vmcnt(0)
	global_atomic_cmpswap_x2 v[12:13], v39, v[18:21], s[20:21] offset:24 glc
	s_waitcnt vmcnt(0)
	buffer_invl2
	buffer_wbinvl1_vol
	v_cmp_ne_u64_e32 vcc, v[12:13], v[20:21]
	s_and_saveexec_b64 s[22:23], vcc
	s_cbranch_execz .LBB0_179
; %bb.176:                              ;   in Loop: Header=BB0_42 Depth=1
	s_mov_b64 s[24:25], 0
.LBB0_177:                              ;   Parent Loop BB0_42 Depth=1
                                        ; =>  This Inner Loop Header: Depth=2
	s_sleep 1
	global_load_dwordx2 v[18:19], v39, s[20:21] offset:40
	global_load_dwordx2 v[22:23], v39, s[20:21]
	v_pk_mov_b32 v[20:21], v[12:13], v[12:13] op_sel:[0,1]
	s_waitcnt vmcnt(1)
	v_and_b32_e32 v9, v18, v20
	s_waitcnt vmcnt(0)
	v_mad_u64_u32 v[12:13], s[26:27], v9, 24, v[22:23]
	v_and_b32_e32 v7, v19, v21
	v_mov_b32_e32 v10, v13
	v_mad_u64_u32 v[18:19], s[26:27], v7, 24, v[10:11]
	v_mov_b32_e32 v13, v18
	global_load_dwordx2 v[18:19], v[12:13], off glc
	s_waitcnt vmcnt(0)
	global_atomic_cmpswap_x2 v[12:13], v39, v[18:21], s[20:21] offset:24 glc
	s_waitcnt vmcnt(0)
	buffer_invl2
	buffer_wbinvl1_vol
	v_cmp_eq_u64_e32 vcc, v[12:13], v[20:21]
	s_or_b64 s[24:25], vcc, s[24:25]
	s_andn2_b64 exec, exec, s[24:25]
	s_cbranch_execnz .LBB0_177
; %bb.178:                              ;   in Loop: Header=BB0_42 Depth=1
	s_or_b64 exec, exec, s[24:25]
.LBB0_179:                              ;   in Loop: Header=BB0_42 Depth=1
	s_or_b64 exec, exec, s[22:23]
.LBB0_180:                              ;   in Loop: Header=BB0_42 Depth=1
	s_or_b64 exec, exec, s[14:15]
	global_load_dwordx2 v[18:19], v39, s[20:21] offset:40
	global_load_dwordx4 v[20:23], v39, s[20:21]
	v_readfirstlane_b32 s22, v12
	v_readfirstlane_b32 s23, v13
	s_mov_b64 s[14:15], exec
	s_waitcnt vmcnt(1)
	v_readfirstlane_b32 s24, v18
	v_readfirstlane_b32 s25, v19
	s_and_b64 s[24:25], s[22:23], s[24:25]
	s_mul_i32 s13, s25, 24
	s_mul_hi_u32 s26, s24, 24
	s_mul_i32 s27, s24, 24
	s_add_i32 s13, s26, s13
	v_mov_b32_e32 v7, s13
	s_waitcnt vmcnt(0)
	v_add_co_u32_e32 v24, vcc, s27, v20
	v_addc_co_u32_e32 v25, vcc, v21, v7, vcc
	s_and_saveexec_b64 s[26:27], s[6:7]
	s_cbranch_execz .LBB0_182
; %bb.181:                              ;   in Loop: Header=BB0_42 Depth=1
	v_pk_mov_b32 v[12:13], s[14:15], s[14:15] op_sel:[0,1]
	global_store_dwordx4 v[24:25], v[12:15], off offset:8
.LBB0_182:                              ;   in Loop: Header=BB0_42 Depth=1
	s_or_b64 exec, exec, s[26:27]
	s_lshl_b64 s[14:15], s[24:25], 12
	v_mov_b32_e32 v7, s15
	v_add_co_u32_e32 v10, vcc, s14, v22
	v_addc_co_u32_e32 v7, vcc, v23, v7, vcc
	v_and_or_b32 v16, v16, s36, 34
	v_mov_b32_e32 v18, v11
	v_mov_b32_e32 v19, v11
	v_readfirstlane_b32 s24, v10
	v_readfirstlane_b32 s25, v7
	s_mov_b32 s14, s12
	s_mov_b32 s15, s12
	;; [unrolled: 1-line block ×3, first 2 shown]
	s_nop 1
	global_store_dwordx4 v54, v[16:19], s[24:25]
	s_nop 0
	v_pk_mov_b32 v[18:19], s[14:15], s[14:15] op_sel:[0,1]
	v_pk_mov_b32 v[16:17], s[12:13], s[12:13] op_sel:[0,1]
	global_store_dwordx4 v54, v[16:19], s[24:25] offset:16
	global_store_dwordx4 v54, v[16:19], s[24:25] offset:32
	global_store_dwordx4 v54, v[16:19], s[24:25] offset:48
	s_and_saveexec_b64 s[14:15], s[6:7]
	s_cbranch_execz .LBB0_190
; %bb.183:                              ;   in Loop: Header=BB0_42 Depth=1
	global_load_dwordx2 v[28:29], v39, s[20:21] offset:32 glc
	global_load_dwordx2 v[12:13], v39, s[20:21] offset:40
	v_mov_b32_e32 v26, s22
	v_mov_b32_e32 v27, s23
	s_waitcnt vmcnt(0)
	v_readfirstlane_b32 s24, v12
	v_readfirstlane_b32 s25, v13
	s_and_b64 s[24:25], s[24:25], s[22:23]
	s_mul_i32 s13, s25, 24
	s_mul_hi_u32 s25, s24, 24
	s_mul_i32 s24, s24, 24
	s_add_i32 s13, s25, s13
	v_mov_b32_e32 v7, s13
	v_add_co_u32_e32 v12, vcc, s24, v20
	v_addc_co_u32_e32 v13, vcc, v21, v7, vcc
	global_store_dwordx2 v[12:13], v[28:29], off
	buffer_wbl2
	s_waitcnt vmcnt(0)
	global_atomic_cmpswap_x2 v[18:19], v39, v[26:29], s[20:21] offset:32 glc
	s_waitcnt vmcnt(0)
	v_cmp_ne_u64_e32 vcc, v[18:19], v[28:29]
	s_and_saveexec_b64 s[24:25], vcc
	s_cbranch_execz .LBB0_186
; %bb.184:                              ;   in Loop: Header=BB0_42 Depth=1
	s_mov_b64 s[26:27], 0
.LBB0_185:                              ;   Parent Loop BB0_42 Depth=1
                                        ; =>  This Inner Loop Header: Depth=2
	s_sleep 1
	global_store_dwordx2 v[12:13], v[18:19], off
	v_mov_b32_e32 v16, s22
	v_mov_b32_e32 v17, s23
	buffer_wbl2
	s_waitcnt vmcnt(0)
	global_atomic_cmpswap_x2 v[16:17], v39, v[16:19], s[20:21] offset:32 glc
	s_waitcnt vmcnt(0)
	v_cmp_eq_u64_e32 vcc, v[16:17], v[18:19]
	s_or_b64 s[26:27], vcc, s[26:27]
	v_pk_mov_b32 v[18:19], v[16:17], v[16:17] op_sel:[0,1]
	s_andn2_b64 exec, exec, s[26:27]
	s_cbranch_execnz .LBB0_185
.LBB0_186:                              ;   in Loop: Header=BB0_42 Depth=1
	s_or_b64 exec, exec, s[24:25]
	global_load_dwordx2 v[12:13], v39, s[20:21] offset:16
	s_mov_b64 s[26:27], exec
	v_mbcnt_lo_u32_b32 v7, s26, 0
	v_mbcnt_hi_u32_b32 v7, s27, v7
	v_cmp_eq_u32_e32 vcc, 0, v7
	s_and_saveexec_b64 s[24:25], vcc
	s_cbranch_execz .LBB0_188
; %bb.187:                              ;   in Loop: Header=BB0_42 Depth=1
	s_bcnt1_i32_b64 s13, s[26:27]
	v_mov_b32_e32 v10, s13
	buffer_wbl2
	s_waitcnt vmcnt(0)
	global_atomic_add_x2 v[12:13], v[10:11], off offset:8
.LBB0_188:                              ;   in Loop: Header=BB0_42 Depth=1
	s_or_b64 exec, exec, s[24:25]
	s_waitcnt vmcnt(0)
	global_load_dwordx2 v[16:17], v[12:13], off offset:16
	s_waitcnt vmcnt(0)
	v_cmp_eq_u64_e32 vcc, 0, v[16:17]
	s_cbranch_vccnz .LBB0_190
; %bb.189:                              ;   in Loop: Header=BB0_42 Depth=1
	global_load_dword v38, v[12:13], off offset:24
	s_waitcnt vmcnt(0)
	v_and_b32_e32 v7, 0xffffff, v38
	v_readfirstlane_b32 m0, v7
	buffer_wbl2
	global_store_dwordx2 v[16:17], v[38:39], off
	s_sendmsg sendmsg(MSG_INTERRUPT)
.LBB0_190:                              ;   in Loop: Header=BB0_42 Depth=1
	s_or_b64 exec, exec, s[14:15]
	s_branch .LBB0_192
.LBB0_191:                              ;   in Loop: Header=BB0_42 Depth=1
	s_branch .LBB0_196
.LBB0_192:                              ;   Parent Loop BB0_42 Depth=1
                                        ; =>  This Inner Loop Header: Depth=2
	v_mov_b32_e32 v7, 1
	s_and_saveexec_b64 s[14:15], s[6:7]
	s_cbranch_execz .LBB0_194
; %bb.193:                              ;   in Loop: Header=BB0_192 Depth=2
	global_load_dword v7, v[24:25], off offset:20 glc
	s_waitcnt vmcnt(0)
	buffer_invl2
	buffer_wbinvl1_vol
	v_and_b32_e32 v7, 1, v7
.LBB0_194:                              ;   in Loop: Header=BB0_192 Depth=2
	s_or_b64 exec, exec, s[14:15]
	v_readfirstlane_b32 s13, v7
	s_cmp_eq_u32 s13, 0
	s_cbranch_scc1 .LBB0_191
; %bb.195:                              ;   in Loop: Header=BB0_192 Depth=2
	s_sleep 1
	s_cbranch_execnz .LBB0_192
.LBB0_196:                              ;   in Loop: Header=BB0_42 Depth=1
	s_and_saveexec_b64 s[14:15], s[6:7]
	s_cbranch_execz .LBB0_200
; %bb.197:                              ;   in Loop: Header=BB0_42 Depth=1
	global_load_dwordx2 v[12:13], v39, s[20:21] offset:40
	global_load_dwordx2 v[20:21], v39, s[20:21] offset:24 glc
	global_load_dwordx2 v[22:23], v39, s[20:21]
	v_mov_b32_e32 v7, s23
	s_waitcnt vmcnt(2)
	v_add_co_u32_e32 v9, vcc, 1, v12
	v_addc_co_u32_e32 v10, vcc, 0, v13, vcc
	v_add_co_u32_e32 v16, vcc, s22, v9
	v_addc_co_u32_e32 v17, vcc, v10, v7, vcc
	v_cmp_eq_u64_e32 vcc, 0, v[16:17]
	v_cndmask_b32_e32 v17, v17, v10, vcc
	v_cndmask_b32_e32 v16, v16, v9, vcc
	v_and_b32_e32 v7, v17, v13
	v_and_b32_e32 v9, v16, v12
	v_mul_lo_u32 v7, v7, 24
	v_mul_hi_u32 v10, v9, 24
	v_mul_lo_u32 v9, v9, 24
	v_add_u32_e32 v7, v10, v7
	s_waitcnt vmcnt(0)
	v_add_co_u32_e32 v12, vcc, v22, v9
	v_addc_co_u32_e32 v13, vcc, v23, v7, vcc
	v_mov_b32_e32 v18, v20
	global_store_dwordx2 v[12:13], v[20:21], off
	v_mov_b32_e32 v19, v21
	buffer_wbl2
	s_waitcnt vmcnt(0)
	global_atomic_cmpswap_x2 v[18:19], v39, v[16:19], s[20:21] offset:24 glc
	s_waitcnt vmcnt(0)
	v_cmp_ne_u64_e32 vcc, v[18:19], v[20:21]
	s_and_b64 exec, exec, vcc
	s_cbranch_execz .LBB0_200
; %bb.198:                              ;   in Loop: Header=BB0_42 Depth=1
	s_mov_b64 s[6:7], 0
.LBB0_199:                              ;   Parent Loop BB0_42 Depth=1
                                        ; =>  This Inner Loop Header: Depth=2
	s_sleep 1
	global_store_dwordx2 v[12:13], v[18:19], off
	buffer_wbl2
	s_waitcnt vmcnt(0)
	global_atomic_cmpswap_x2 v[20:21], v39, v[16:19], s[20:21] offset:24 glc
	s_waitcnt vmcnt(0)
	v_cmp_eq_u64_e32 vcc, v[20:21], v[18:19]
	s_or_b64 s[6:7], vcc, s[6:7]
	v_pk_mov_b32 v[18:19], v[20:21], v[20:21] op_sel:[0,1]
	s_andn2_b64 exec, exec, s[6:7]
	s_cbranch_execnz .LBB0_199
.LBB0_200:                              ;   in Loop: Header=BB0_42 Depth=1
	s_or_b64 exec, exec, s[14:15]
.LBB0_201:                              ;   in Loop: Header=BB0_42 Depth=1
	v_readfirstlane_b32 s6, v51
	v_cmp_eq_u32_e64 s[6:7], s6, v51
	v_pk_mov_b32 v[12:13], 0, 0
	s_and_saveexec_b64 s[14:15], s[6:7]
	s_cbranch_execz .LBB0_207
; %bb.202:                              ;   in Loop: Header=BB0_42 Depth=1
	global_load_dwordx2 v[18:19], v39, s[20:21] offset:24 glc
	s_waitcnt vmcnt(0)
	buffer_invl2
	buffer_wbinvl1_vol
	global_load_dwordx2 v[12:13], v39, s[20:21] offset:40
	global_load_dwordx2 v[16:17], v39, s[20:21]
	s_waitcnt vmcnt(1)
	v_and_b32_e32 v7, v12, v18
	v_and_b32_e32 v9, v13, v19
	v_mul_lo_u32 v9, v9, 24
	v_mul_hi_u32 v10, v7, 24
	v_mul_lo_u32 v7, v7, 24
	v_add_u32_e32 v9, v10, v9
	s_waitcnt vmcnt(0)
	v_add_co_u32_e32 v12, vcc, v16, v7
	v_addc_co_u32_e32 v13, vcc, v17, v9, vcc
	global_load_dwordx2 v[16:17], v[12:13], off glc
	s_waitcnt vmcnt(0)
	global_atomic_cmpswap_x2 v[12:13], v39, v[16:19], s[20:21] offset:24 glc
	s_waitcnt vmcnt(0)
	buffer_invl2
	buffer_wbinvl1_vol
	v_cmp_ne_u64_e32 vcc, v[12:13], v[18:19]
	s_and_saveexec_b64 s[22:23], vcc
	s_cbranch_execz .LBB0_206
; %bb.203:                              ;   in Loop: Header=BB0_42 Depth=1
	s_mov_b64 s[24:25], 0
.LBB0_204:                              ;   Parent Loop BB0_42 Depth=1
                                        ; =>  This Inner Loop Header: Depth=2
	s_sleep 1
	global_load_dwordx2 v[16:17], v39, s[20:21] offset:40
	global_load_dwordx2 v[20:21], v39, s[20:21]
	v_pk_mov_b32 v[18:19], v[12:13], v[12:13] op_sel:[0,1]
	s_waitcnt vmcnt(1)
	v_and_b32_e32 v9, v16, v18
	s_waitcnt vmcnt(0)
	v_mad_u64_u32 v[12:13], s[26:27], v9, 24, v[20:21]
	v_and_b32_e32 v7, v17, v19
	v_mov_b32_e32 v10, v13
	v_mad_u64_u32 v[16:17], s[26:27], v7, 24, v[10:11]
	v_mov_b32_e32 v13, v16
	global_load_dwordx2 v[16:17], v[12:13], off glc
	s_waitcnt vmcnt(0)
	global_atomic_cmpswap_x2 v[12:13], v39, v[16:19], s[20:21] offset:24 glc
	s_waitcnt vmcnt(0)
	buffer_invl2
	buffer_wbinvl1_vol
	v_cmp_eq_u64_e32 vcc, v[12:13], v[18:19]
	s_or_b64 s[24:25], vcc, s[24:25]
	s_andn2_b64 exec, exec, s[24:25]
	s_cbranch_execnz .LBB0_204
; %bb.205:                              ;   in Loop: Header=BB0_42 Depth=1
	s_or_b64 exec, exec, s[24:25]
.LBB0_206:                              ;   in Loop: Header=BB0_42 Depth=1
	s_or_b64 exec, exec, s[22:23]
.LBB0_207:                              ;   in Loop: Header=BB0_42 Depth=1
	s_or_b64 exec, exec, s[14:15]
	global_load_dwordx2 v[20:21], v39, s[20:21] offset:40
	global_load_dwordx4 v[16:19], v39, s[20:21]
	v_readfirstlane_b32 s22, v12
	v_readfirstlane_b32 s23, v13
	s_mov_b64 s[14:15], exec
	s_waitcnt vmcnt(1)
	v_readfirstlane_b32 s24, v20
	v_readfirstlane_b32 s25, v21
	s_and_b64 s[24:25], s[22:23], s[24:25]
	s_mul_i32 s13, s25, 24
	s_mul_hi_u32 s26, s24, 24
	s_mul_i32 s27, s24, 24
	s_add_i32 s13, s26, s13
	v_mov_b32_e32 v7, s13
	s_waitcnt vmcnt(0)
	v_add_co_u32_e32 v20, vcc, s27, v16
	v_addc_co_u32_e32 v21, vcc, v17, v7, vcc
	s_and_saveexec_b64 s[26:27], s[6:7]
	s_cbranch_execz .LBB0_209
; %bb.208:                              ;   in Loop: Header=BB0_42 Depth=1
	v_pk_mov_b32 v[12:13], s[14:15], s[14:15] op_sel:[0,1]
	global_store_dwordx4 v[20:21], v[12:15], off offset:8
.LBB0_209:                              ;   in Loop: Header=BB0_42 Depth=1
	s_or_b64 exec, exec, s[26:27]
	s_lshl_b64 s[14:15], s[24:25], 12
	v_mov_b32_e32 v7, s15
	v_add_co_u32_e32 v12, vcc, s14, v18
	s_mov_b32 s14, s12
	s_mov_b32 s15, s12
	v_addc_co_u32_e32 v7, vcc, v19, v7, vcc
	s_mov_b32 s13, s12
	v_pk_mov_b32 v[24:25], s[14:15], s[14:15] op_sel:[0,1]
	v_mov_b32_e32 v9, v11
	v_mov_b32_e32 v10, v11
	v_readfirstlane_b32 s24, v12
	v_readfirstlane_b32 s25, v7
	v_pk_mov_b32 v[22:23], s[12:13], s[12:13] op_sel:[0,1]
	s_nop 3
	global_store_dwordx4 v54, v[8:11], s[24:25]
	global_store_dwordx4 v54, v[22:25], s[24:25] offset:16
	global_store_dwordx4 v54, v[22:25], s[24:25] offset:32
	;; [unrolled: 1-line block ×3, first 2 shown]
	s_and_saveexec_b64 s[14:15], s[6:7]
	s_cbranch_execz .LBB0_217
; %bb.210:                              ;   in Loop: Header=BB0_42 Depth=1
	global_load_dwordx2 v[26:27], v39, s[20:21] offset:32 glc
	global_load_dwordx2 v[18:19], v39, s[20:21] offset:40
	v_mov_b32_e32 v24, s22
	v_mov_b32_e32 v25, s23
	s_waitcnt vmcnt(0)
	v_readfirstlane_b32 s24, v18
	v_readfirstlane_b32 s25, v19
	s_and_b64 s[24:25], s[24:25], s[22:23]
	s_mul_i32 s13, s25, 24
	s_mul_hi_u32 s25, s24, 24
	s_mul_i32 s24, s24, 24
	s_add_i32 s13, s25, s13
	v_mov_b32_e32 v9, s13
	v_add_co_u32_e32 v22, vcc, s24, v16
	v_addc_co_u32_e32 v23, vcc, v17, v9, vcc
	global_store_dwordx2 v[22:23], v[26:27], off
	buffer_wbl2
	s_waitcnt vmcnt(0)
	global_atomic_cmpswap_x2 v[18:19], v39, v[24:27], s[20:21] offset:32 glc
	s_waitcnt vmcnt(0)
	v_cmp_ne_u64_e32 vcc, v[18:19], v[26:27]
	s_and_saveexec_b64 s[24:25], vcc
	s_cbranch_execz .LBB0_213
; %bb.211:                              ;   in Loop: Header=BB0_42 Depth=1
	s_mov_b64 s[26:27], 0
.LBB0_212:                              ;   Parent Loop BB0_42 Depth=1
                                        ; =>  This Inner Loop Header: Depth=2
	s_sleep 1
	global_store_dwordx2 v[22:23], v[18:19], off
	v_mov_b32_e32 v16, s22
	v_mov_b32_e32 v17, s23
	buffer_wbl2
	s_waitcnt vmcnt(0)
	global_atomic_cmpswap_x2 v[16:17], v39, v[16:19], s[20:21] offset:32 glc
	s_waitcnt vmcnt(0)
	v_cmp_eq_u64_e32 vcc, v[16:17], v[18:19]
	s_or_b64 s[26:27], vcc, s[26:27]
	v_pk_mov_b32 v[18:19], v[16:17], v[16:17] op_sel:[0,1]
	s_andn2_b64 exec, exec, s[26:27]
	s_cbranch_execnz .LBB0_212
.LBB0_213:                              ;   in Loop: Header=BB0_42 Depth=1
	s_or_b64 exec, exec, s[24:25]
	global_load_dwordx2 v[16:17], v39, s[20:21] offset:16
	s_mov_b64 s[26:27], exec
	v_mbcnt_lo_u32_b32 v9, s26, 0
	v_mbcnt_hi_u32_b32 v9, s27, v9
	v_cmp_eq_u32_e32 vcc, 0, v9
	s_and_saveexec_b64 s[24:25], vcc
	s_cbranch_execz .LBB0_215
; %bb.214:                              ;   in Loop: Header=BB0_42 Depth=1
	s_bcnt1_i32_b64 s13, s[26:27]
	v_mov_b32_e32 v10, s13
	buffer_wbl2
	s_waitcnt vmcnt(0)
	global_atomic_add_x2 v[16:17], v[10:11], off offset:8
.LBB0_215:                              ;   in Loop: Header=BB0_42 Depth=1
	s_or_b64 exec, exec, s[24:25]
	s_waitcnt vmcnt(0)
	global_load_dwordx2 v[18:19], v[16:17], off offset:16
	s_waitcnt vmcnt(0)
	v_cmp_eq_u64_e32 vcc, 0, v[18:19]
	s_cbranch_vccnz .LBB0_217
; %bb.216:                              ;   in Loop: Header=BB0_42 Depth=1
	global_load_dword v38, v[16:17], off offset:24
	s_waitcnt vmcnt(0)
	v_and_b32_e32 v9, 0xffffff, v38
	v_readfirstlane_b32 m0, v9
	buffer_wbl2
	global_store_dwordx2 v[18:19], v[38:39], off
	s_sendmsg sendmsg(MSG_INTERRUPT)
.LBB0_217:                              ;   in Loop: Header=BB0_42 Depth=1
	s_or_b64 exec, exec, s[14:15]
	v_add_co_u32_e32 v12, vcc, v12, v54
	v_addc_co_u32_e32 v13, vcc, 0, v7, vcc
	s_branch .LBB0_219
.LBB0_218:                              ;   in Loop: Header=BB0_42 Depth=1
	s_branch .LBB0_223
.LBB0_219:                              ;   Parent Loop BB0_42 Depth=1
                                        ; =>  This Inner Loop Header: Depth=2
	v_mov_b32_e32 v7, 1
	s_and_saveexec_b64 s[14:15], s[6:7]
	s_cbranch_execz .LBB0_221
; %bb.220:                              ;   in Loop: Header=BB0_219 Depth=2
	global_load_dword v7, v[20:21], off offset:20 glc
	s_waitcnt vmcnt(0)
	buffer_invl2
	buffer_wbinvl1_vol
	v_and_b32_e32 v7, 1, v7
.LBB0_221:                              ;   in Loop: Header=BB0_219 Depth=2
	s_or_b64 exec, exec, s[14:15]
	v_readfirstlane_b32 s13, v7
	s_cmp_eq_u32 s13, 0
	s_cbranch_scc1 .LBB0_218
; %bb.222:                              ;   in Loop: Header=BB0_219 Depth=2
	s_sleep 1
	s_cbranch_execnz .LBB0_219
.LBB0_223:                              ;   in Loop: Header=BB0_42 Depth=1
	global_load_dwordx2 v[16:17], v[12:13], off
	s_and_saveexec_b64 s[14:15], s[6:7]
	s_cbranch_execz .LBB0_227
; %bb.224:                              ;   in Loop: Header=BB0_42 Depth=1
	global_load_dwordx2 v[12:13], v39, s[20:21] offset:40
	global_load_dwordx2 v[22:23], v39, s[20:21] offset:24 glc
	global_load_dwordx2 v[24:25], v39, s[20:21]
	v_mov_b32_e32 v7, s23
	s_waitcnt vmcnt(2)
	v_add_co_u32_e32 v9, vcc, 1, v12
	v_addc_co_u32_e32 v10, vcc, 0, v13, vcc
	v_add_co_u32_e32 v18, vcc, s22, v9
	v_addc_co_u32_e32 v19, vcc, v10, v7, vcc
	v_cmp_eq_u64_e32 vcc, 0, v[18:19]
	v_cndmask_b32_e32 v19, v19, v10, vcc
	v_cndmask_b32_e32 v18, v18, v9, vcc
	v_and_b32_e32 v7, v19, v13
	v_and_b32_e32 v9, v18, v12
	v_mul_lo_u32 v7, v7, 24
	v_mul_hi_u32 v10, v9, 24
	v_mul_lo_u32 v9, v9, 24
	v_add_u32_e32 v7, v10, v7
	s_waitcnt vmcnt(0)
	v_add_co_u32_e32 v12, vcc, v24, v9
	v_addc_co_u32_e32 v13, vcc, v25, v7, vcc
	v_mov_b32_e32 v20, v22
	global_store_dwordx2 v[12:13], v[22:23], off
	v_mov_b32_e32 v21, v23
	buffer_wbl2
	s_waitcnt vmcnt(0)
	global_atomic_cmpswap_x2 v[20:21], v39, v[18:21], s[20:21] offset:24 glc
	s_waitcnt vmcnt(0)
	v_cmp_ne_u64_e32 vcc, v[20:21], v[22:23]
	s_and_b64 exec, exec, vcc
	s_cbranch_execz .LBB0_227
; %bb.225:                              ;   in Loop: Header=BB0_42 Depth=1
	s_mov_b64 s[6:7], 0
.LBB0_226:                              ;   Parent Loop BB0_42 Depth=1
                                        ; =>  This Inner Loop Header: Depth=2
	s_sleep 1
	global_store_dwordx2 v[12:13], v[20:21], off
	buffer_wbl2
	s_waitcnt vmcnt(0)
	global_atomic_cmpswap_x2 v[22:23], v39, v[18:21], s[20:21] offset:24 glc
	s_waitcnt vmcnt(0)
	v_cmp_eq_u64_e32 vcc, v[22:23], v[20:21]
	s_or_b64 s[6:7], vcc, s[6:7]
	v_pk_mov_b32 v[20:21], v[22:23], v[22:23] op_sel:[0,1]
	s_andn2_b64 exec, exec, s[6:7]
	s_cbranch_execnz .LBB0_226
.LBB0_227:                              ;   in Loop: Header=BB0_42 Depth=1
	s_or_b64 exec, exec, s[14:15]
	s_and_b64 vcc, exec, s[10:11]
	s_cbranch_vccz .LBB0_312
; %bb.228:                              ;   in Loop: Header=BB0_42 Depth=1
	s_waitcnt vmcnt(0)
	v_and_b32_e32 v18, -3, v16
	v_mov_b32_e32 v19, v17
	s_mov_b64 s[22:23], 39
	s_getpc_b64 s[14:15]
	s_add_u32 s14, s14, .str.2@rel32@lo+4
	s_addc_u32 s15, s15, .str.2@rel32@hi+12
	s_branch .LBB0_230
.LBB0_229:                              ;   in Loop: Header=BB0_230 Depth=2
	s_or_b64 exec, exec, s[28:29]
	s_sub_u32 s22, s22, s24
	s_subb_u32 s23, s23, s25
	s_add_u32 s14, s14, s24
	s_addc_u32 s15, s15, s25
	s_cmp_lg_u64 s[22:23], 0
	s_cbranch_scc0 .LBB0_311
.LBB0_230:                              ;   Parent Loop BB0_42 Depth=1
                                        ; =>  This Loop Header: Depth=2
                                        ;       Child Loop BB0_233 Depth 3
                                        ;       Child Loop BB0_240 Depth 3
	;; [unrolled: 1-line block ×11, first 2 shown]
	v_cmp_lt_u64_e64 s[6:7], s[22:23], 56
	s_and_b64 s[6:7], s[6:7], exec
	v_cmp_gt_u64_e64 s[6:7], s[22:23], 7
	s_cselect_b32 s25, s23, 0
	s_cselect_b32 s24, s22, 56
	s_and_b64 vcc, exec, s[6:7]
	s_cbranch_vccnz .LBB0_235
; %bb.231:                              ;   in Loop: Header=BB0_230 Depth=2
	s_mov_b64 s[6:7], 0
	s_cmp_eq_u64 s[22:23], 0
	s_waitcnt vmcnt(0)
	v_pk_mov_b32 v[20:21], 0, 0
	s_cbranch_scc1 .LBB0_234
; %bb.232:                              ;   in Loop: Header=BB0_230 Depth=2
	s_lshl_b64 s[26:27], s[24:25], 3
	s_mov_b64 s[28:29], 0
	v_pk_mov_b32 v[20:21], 0, 0
	s_mov_b64 vcc, s[14:15]
.LBB0_233:                              ;   Parent Loop BB0_42 Depth=1
                                        ;     Parent Loop BB0_230 Depth=2
                                        ; =>    This Inner Loop Header: Depth=3
	global_load_ubyte v7, v39, vcc
	s_waitcnt vmcnt(0)
	v_and_b32_e32 v38, 0xffff, v7
	v_lshlrev_b64 v[12:13], s28, v[38:39]
	s_add_u32 s28, s28, 8
	s_addc_u32 s29, s29, 0
	s_add_u32 vcc_lo, vcc_lo, 1
	s_addc_u32 vcc_hi, vcc_hi, 0
	v_or_b32_e32 v20, v12, v20
	s_cmp_lg_u32 s26, s28
	v_or_b32_e32 v21, v13, v21
	s_cbranch_scc1 .LBB0_233
.LBB0_234:                              ;   in Loop: Header=BB0_230 Depth=2
	s_mov_b32 s13, 0
	s_andn2_b64 vcc, exec, s[6:7]
	s_mov_b64 s[6:7], s[14:15]
	s_cbranch_vccz .LBB0_236
	s_branch .LBB0_237
.LBB0_235:                              ;   in Loop: Header=BB0_230 Depth=2
                                        ; implicit-def: $sgpr13
	s_mov_b64 s[6:7], s[14:15]
.LBB0_236:                              ;   in Loop: Header=BB0_230 Depth=2
	global_load_dwordx2 v[20:21], v39, s[14:15]
	s_add_i32 s13, s24, -8
	s_add_u32 s6, s14, 8
	s_addc_u32 s7, s15, 0
.LBB0_237:                              ;   in Loop: Header=BB0_230 Depth=2
	s_cmp_gt_u32 s13, 7
	s_cbranch_scc1 .LBB0_299
; %bb.238:                              ;   in Loop: Header=BB0_230 Depth=2
	s_cmp_eq_u32 s13, 0
	s_cbranch_scc1 .LBB0_305
; %bb.239:                              ;   in Loop: Header=BB0_230 Depth=2
	s_mov_b64 s[26:27], 0
	v_pk_mov_b32 v[22:23], 0, 0
	s_mov_b64 s[28:29], 0
.LBB0_240:                              ;   Parent Loop BB0_42 Depth=1
                                        ;     Parent Loop BB0_230 Depth=2
                                        ; =>    This Inner Loop Header: Depth=3
	s_add_u32 vcc_lo, s6, s28
	s_addc_u32 vcc_hi, s7, s29
	global_load_ubyte v7, v39, vcc
	s_add_u32 s28, s28, 1
	s_addc_u32 s29, s29, 0
	s_waitcnt vmcnt(0)
	v_and_b32_e32 v38, 0xffff, v7
	v_lshlrev_b64 v[12:13], s26, v[38:39]
	s_add_u32 s26, s26, 8
	s_addc_u32 s27, s27, 0
	v_or_b32_e32 v22, v12, v22
	s_cmp_lg_u32 s13, s28
	v_or_b32_e32 v23, v13, v23
	s_cbranch_scc1 .LBB0_240
; %bb.241:                              ;   in Loop: Header=BB0_230 Depth=2
	s_mov_b32 s30, 0
	s_cbranch_execnz .LBB0_243
.LBB0_242:                              ;   in Loop: Header=BB0_230 Depth=2
	global_load_dwordx2 v[22:23], v39, s[6:7]
	s_add_i32 s30, s13, -8
	s_add_u32 s6, s6, 8
	s_addc_u32 s7, s7, 0
.LBB0_243:                              ;   in Loop: Header=BB0_230 Depth=2
	s_cmp_gt_u32 s30, 7
	s_cbranch_scc1 .LBB0_300
; %bb.244:                              ;   in Loop: Header=BB0_230 Depth=2
	s_cmp_eq_u32 s30, 0
	s_cbranch_scc1 .LBB0_306
; %bb.245:                              ;   in Loop: Header=BB0_230 Depth=2
	s_mov_b64 s[26:27], 0
	v_pk_mov_b32 v[24:25], 0, 0
	s_mov_b64 s[28:29], 0
.LBB0_246:                              ;   Parent Loop BB0_42 Depth=1
                                        ;     Parent Loop BB0_230 Depth=2
                                        ; =>    This Inner Loop Header: Depth=3
	s_add_u32 vcc_lo, s6, s28
	s_addc_u32 vcc_hi, s7, s29
	global_load_ubyte v7, v39, vcc
	s_add_u32 s28, s28, 1
	s_addc_u32 s29, s29, 0
	s_waitcnt vmcnt(0)
	v_and_b32_e32 v38, 0xffff, v7
	v_lshlrev_b64 v[12:13], s26, v[38:39]
	s_add_u32 s26, s26, 8
	s_addc_u32 s27, s27, 0
	v_or_b32_e32 v24, v12, v24
	s_cmp_lg_u32 s30, s28
	v_or_b32_e32 v25, v13, v25
	s_cbranch_scc1 .LBB0_246
; %bb.247:                              ;   in Loop: Header=BB0_230 Depth=2
	s_mov_b32 s13, 0
	s_cbranch_execnz .LBB0_249
.LBB0_248:                              ;   in Loop: Header=BB0_230 Depth=2
	global_load_dwordx2 v[24:25], v39, s[6:7]
	s_add_i32 s13, s30, -8
	s_add_u32 s6, s6, 8
	s_addc_u32 s7, s7, 0
.LBB0_249:                              ;   in Loop: Header=BB0_230 Depth=2
	s_cmp_gt_u32 s13, 7
	s_cbranch_scc1 .LBB0_301
; %bb.250:                              ;   in Loop: Header=BB0_230 Depth=2
	s_cmp_eq_u32 s13, 0
	s_cbranch_scc1 .LBB0_307
; %bb.251:                              ;   in Loop: Header=BB0_230 Depth=2
	s_mov_b64 s[26:27], 0
	v_pk_mov_b32 v[26:27], 0, 0
	s_mov_b64 s[28:29], 0
.LBB0_252:                              ;   Parent Loop BB0_42 Depth=1
                                        ;     Parent Loop BB0_230 Depth=2
                                        ; =>    This Inner Loop Header: Depth=3
	s_add_u32 vcc_lo, s6, s28
	s_addc_u32 vcc_hi, s7, s29
	global_load_ubyte v7, v39, vcc
	s_add_u32 s28, s28, 1
	s_addc_u32 s29, s29, 0
	s_waitcnt vmcnt(0)
	v_and_b32_e32 v38, 0xffff, v7
	v_lshlrev_b64 v[12:13], s26, v[38:39]
	s_add_u32 s26, s26, 8
	s_addc_u32 s27, s27, 0
	v_or_b32_e32 v26, v12, v26
	s_cmp_lg_u32 s13, s28
	v_or_b32_e32 v27, v13, v27
	s_cbranch_scc1 .LBB0_252
; %bb.253:                              ;   in Loop: Header=BB0_230 Depth=2
	s_mov_b32 s30, 0
	s_cbranch_execnz .LBB0_255
.LBB0_254:                              ;   in Loop: Header=BB0_230 Depth=2
	global_load_dwordx2 v[26:27], v39, s[6:7]
	s_add_i32 s30, s13, -8
	s_add_u32 s6, s6, 8
	s_addc_u32 s7, s7, 0
.LBB0_255:                              ;   in Loop: Header=BB0_230 Depth=2
	s_cmp_gt_u32 s30, 7
	s_cbranch_scc1 .LBB0_302
; %bb.256:                              ;   in Loop: Header=BB0_230 Depth=2
	s_cmp_eq_u32 s30, 0
	s_cbranch_scc1 .LBB0_308
; %bb.257:                              ;   in Loop: Header=BB0_230 Depth=2
	s_mov_b64 s[26:27], 0
	v_pk_mov_b32 v[28:29], 0, 0
	s_mov_b64 s[28:29], 0
.LBB0_258:                              ;   Parent Loop BB0_42 Depth=1
                                        ;     Parent Loop BB0_230 Depth=2
                                        ; =>    This Inner Loop Header: Depth=3
	s_add_u32 vcc_lo, s6, s28
	s_addc_u32 vcc_hi, s7, s29
	global_load_ubyte v7, v39, vcc
	s_add_u32 s28, s28, 1
	s_addc_u32 s29, s29, 0
	s_waitcnt vmcnt(0)
	v_and_b32_e32 v38, 0xffff, v7
	v_lshlrev_b64 v[12:13], s26, v[38:39]
	s_add_u32 s26, s26, 8
	s_addc_u32 s27, s27, 0
	v_or_b32_e32 v28, v12, v28
	s_cmp_lg_u32 s30, s28
	v_or_b32_e32 v29, v13, v29
	s_cbranch_scc1 .LBB0_258
; %bb.259:                              ;   in Loop: Header=BB0_230 Depth=2
	s_mov_b32 s13, 0
	s_cbranch_execnz .LBB0_261
.LBB0_260:                              ;   in Loop: Header=BB0_230 Depth=2
	global_load_dwordx2 v[28:29], v39, s[6:7]
	s_add_i32 s13, s30, -8
	s_add_u32 s6, s6, 8
	s_addc_u32 s7, s7, 0
.LBB0_261:                              ;   in Loop: Header=BB0_230 Depth=2
	s_cmp_gt_u32 s13, 7
	s_cbranch_scc1 .LBB0_303
; %bb.262:                              ;   in Loop: Header=BB0_230 Depth=2
	s_cmp_eq_u32 s13, 0
	s_cbranch_scc1 .LBB0_309
; %bb.263:                              ;   in Loop: Header=BB0_230 Depth=2
	s_mov_b64 s[26:27], 0
	v_pk_mov_b32 v[30:31], 0, 0
	s_mov_b64 s[28:29], 0
.LBB0_264:                              ;   Parent Loop BB0_42 Depth=1
                                        ;     Parent Loop BB0_230 Depth=2
                                        ; =>    This Inner Loop Header: Depth=3
	s_add_u32 vcc_lo, s6, s28
	s_addc_u32 vcc_hi, s7, s29
	global_load_ubyte v7, v39, vcc
	s_add_u32 s28, s28, 1
	s_addc_u32 s29, s29, 0
	s_waitcnt vmcnt(0)
	v_and_b32_e32 v38, 0xffff, v7
	v_lshlrev_b64 v[12:13], s26, v[38:39]
	s_add_u32 s26, s26, 8
	s_addc_u32 s27, s27, 0
	v_or_b32_e32 v30, v12, v30
	s_cmp_lg_u32 s13, s28
	v_or_b32_e32 v31, v13, v31
	s_cbranch_scc1 .LBB0_264
; %bb.265:                              ;   in Loop: Header=BB0_230 Depth=2
	s_mov_b32 s30, 0
	s_cbranch_execnz .LBB0_267
.LBB0_266:                              ;   in Loop: Header=BB0_230 Depth=2
	global_load_dwordx2 v[30:31], v39, s[6:7]
	s_add_i32 s30, s13, -8
	s_add_u32 s6, s6, 8
	s_addc_u32 s7, s7, 0
.LBB0_267:                              ;   in Loop: Header=BB0_230 Depth=2
	s_cmp_gt_u32 s30, 7
	s_cbranch_scc1 .LBB0_304
; %bb.268:                              ;   in Loop: Header=BB0_230 Depth=2
	s_cmp_eq_u32 s30, 0
	s_cbranch_scc1 .LBB0_310
; %bb.269:                              ;   in Loop: Header=BB0_230 Depth=2
	s_mov_b64 s[26:27], 0
	v_pk_mov_b32 v[32:33], 0, 0
	s_mov_b64 s[28:29], s[6:7]
.LBB0_270:                              ;   Parent Loop BB0_42 Depth=1
                                        ;     Parent Loop BB0_230 Depth=2
                                        ; =>    This Inner Loop Header: Depth=3
	global_load_ubyte v7, v39, s[28:29]
	s_add_i32 s30, s30, -1
	s_waitcnt vmcnt(0)
	v_and_b32_e32 v38, 0xffff, v7
	v_lshlrev_b64 v[12:13], s26, v[38:39]
	s_add_u32 s26, s26, 8
	s_addc_u32 s27, s27, 0
	s_add_u32 s28, s28, 1
	s_addc_u32 s29, s29, 0
	v_or_b32_e32 v32, v12, v32
	s_cmp_lg_u32 s30, 0
	v_or_b32_e32 v33, v13, v33
	s_cbranch_scc1 .LBB0_270
; %bb.271:                              ;   in Loop: Header=BB0_230 Depth=2
	s_cbranch_execnz .LBB0_273
.LBB0_272:                              ;   in Loop: Header=BB0_230 Depth=2
	global_load_dwordx2 v[32:33], v39, s[6:7]
.LBB0_273:                              ;   in Loop: Header=BB0_230 Depth=2
	v_readfirstlane_b32 s6, v51
	v_cmp_eq_u32_e64 s[6:7], s6, v51
	v_pk_mov_b32 v[12:13], 0, 0
	s_and_saveexec_b64 s[26:27], s[6:7]
	s_cbranch_execz .LBB0_279
; %bb.274:                              ;   in Loop: Header=BB0_230 Depth=2
	global_load_dwordx2 v[36:37], v39, s[20:21] offset:24 glc
	s_waitcnt vmcnt(0)
	buffer_invl2
	buffer_wbinvl1_vol
	global_load_dwordx2 v[12:13], v39, s[20:21] offset:40
	global_load_dwordx2 v[34:35], v39, s[20:21]
	s_waitcnt vmcnt(1)
	v_and_b32_e32 v7, v12, v36
	v_and_b32_e32 v9, v13, v37
	v_mul_lo_u32 v9, v9, 24
	v_mul_hi_u32 v10, v7, 24
	v_mul_lo_u32 v7, v7, 24
	v_add_u32_e32 v9, v10, v9
	s_waitcnt vmcnt(0)
	v_add_co_u32_e32 v12, vcc, v34, v7
	v_addc_co_u32_e32 v13, vcc, v35, v9, vcc
	global_load_dwordx2 v[34:35], v[12:13], off glc
	s_waitcnt vmcnt(0)
	global_atomic_cmpswap_x2 v[12:13], v39, v[34:37], s[20:21] offset:24 glc
	s_waitcnt vmcnt(0)
	buffer_invl2
	buffer_wbinvl1_vol
	v_cmp_ne_u64_e32 vcc, v[12:13], v[36:37]
	s_and_saveexec_b64 s[28:29], vcc
	s_cbranch_execz .LBB0_278
; %bb.275:                              ;   in Loop: Header=BB0_230 Depth=2
	s_mov_b64 s[30:31], 0
.LBB0_276:                              ;   Parent Loop BB0_42 Depth=1
                                        ;     Parent Loop BB0_230 Depth=2
                                        ; =>    This Inner Loop Header: Depth=3
	s_sleep 1
	global_load_dwordx2 v[34:35], v39, s[20:21] offset:40
	global_load_dwordx2 v[48:49], v39, s[20:21]
	v_pk_mov_b32 v[36:37], v[12:13], v[12:13] op_sel:[0,1]
	s_waitcnt vmcnt(1)
	v_and_b32_e32 v9, v34, v36
	s_waitcnt vmcnt(0)
	v_mad_u64_u32 v[12:13], vcc, v9, 24, v[48:49]
	v_and_b32_e32 v7, v35, v37
	v_mov_b32_e32 v10, v13
	v_mad_u64_u32 v[34:35], vcc, v7, 24, v[10:11]
	v_mov_b32_e32 v13, v34
	global_load_dwordx2 v[34:35], v[12:13], off glc
	s_waitcnt vmcnt(0)
	global_atomic_cmpswap_x2 v[12:13], v39, v[34:37], s[20:21] offset:24 glc
	s_waitcnt vmcnt(0)
	buffer_invl2
	buffer_wbinvl1_vol
	v_cmp_eq_u64_e32 vcc, v[12:13], v[36:37]
	s_or_b64 s[30:31], vcc, s[30:31]
	s_andn2_b64 exec, exec, s[30:31]
	s_cbranch_execnz .LBB0_276
; %bb.277:                              ;   in Loop: Header=BB0_230 Depth=2
	s_or_b64 exec, exec, s[30:31]
.LBB0_278:                              ;   in Loop: Header=BB0_230 Depth=2
	s_or_b64 exec, exec, s[28:29]
.LBB0_279:                              ;   in Loop: Header=BB0_230 Depth=2
	s_or_b64 exec, exec, s[26:27]
	global_load_dwordx2 v[48:49], v39, s[20:21] offset:40
	global_load_dwordx4 v[34:37], v39, s[20:21]
	v_readfirstlane_b32 s26, v12
	v_readfirstlane_b32 s27, v13
	s_mov_b64 s[28:29], exec
	s_waitcnt vmcnt(1)
	v_readfirstlane_b32 vcc_lo, v48
	v_readfirstlane_b32 vcc_hi, v49
	s_and_b64 s[30:31], s[26:27], vcc
	s_mul_i32 s13, s31, 24
	s_mul_hi_u32 vcc_lo, s30, 24
	s_mul_i32 vcc_hi, s30, 24
	s_add_i32 s13, vcc_lo, s13
	v_mov_b32_e32 v7, s13
	s_waitcnt vmcnt(0)
	v_add_co_u32_e32 v48, vcc, vcc_hi, v34
	v_addc_co_u32_e32 v49, vcc, v35, v7, vcc
	s_and_saveexec_b64 vcc, s[6:7]
	s_cbranch_execz .LBB0_281
; %bb.280:                              ;   in Loop: Header=BB0_230 Depth=2
	v_pk_mov_b32 v[12:13], s[28:29], s[28:29] op_sel:[0,1]
	global_store_dwordx4 v[48:49], v[12:15], off offset:8
.LBB0_281:                              ;   in Loop: Header=BB0_230 Depth=2
	s_or_b64 exec, exec, vcc
	s_lshl_b64 s[28:29], s[30:31], 12
	v_mov_b32_e32 v7, s29
	v_add_co_u32_e32 v12, vcc, s28, v36
	v_addc_co_u32_e32 v7, vcc, v37, v7, vcc
	v_or_b32_e32 v9, 2, v18
	v_cmp_gt_u64_e64 vcc, s[22:23], 56
	s_lshl_b32 s13, s24, 2
	v_cndmask_b32_e32 v9, v9, v18, vcc
	s_add_i32 s13, s13, 28
	s_and_b32 s13, s13, 0x1e0
	v_and_b32_e32 v9, 0xffffff1f, v9
	v_or_b32_e32 v18, s13, v9
	v_readfirstlane_b32 s28, v12
	v_readfirstlane_b32 s29, v7
	s_nop 4
	global_store_dwordx4 v54, v[18:21], s[28:29]
	global_store_dwordx4 v54, v[22:25], s[28:29] offset:16
	global_store_dwordx4 v54, v[26:29], s[28:29] offset:32
	;; [unrolled: 1-line block ×3, first 2 shown]
	s_and_saveexec_b64 s[28:29], s[6:7]
	s_cbranch_execz .LBB0_289
; %bb.282:                              ;   in Loop: Header=BB0_230 Depth=2
	global_load_dwordx2 v[26:27], v39, s[20:21] offset:32 glc
	global_load_dwordx2 v[18:19], v39, s[20:21] offset:40
	v_mov_b32_e32 v24, s26
	v_mov_b32_e32 v25, s27
	s_waitcnt vmcnt(0)
	v_readfirstlane_b32 vcc_lo, v18
	v_readfirstlane_b32 vcc_hi, v19
	s_and_b64 vcc, vcc, s[26:27]
	s_mul_i32 s13, vcc_hi, 24
	s_mul_hi_u32 vcc_hi, vcc_lo, 24
	s_mul_i32 vcc_lo, vcc_lo, 24
	s_add_i32 s13, vcc_hi, s13
	v_mov_b32_e32 v9, s13
	v_add_co_u32_e32 v22, vcc, vcc_lo, v34
	v_addc_co_u32_e32 v23, vcc, v35, v9, vcc
	global_store_dwordx2 v[22:23], v[26:27], off
	buffer_wbl2
	s_waitcnt vmcnt(0)
	global_atomic_cmpswap_x2 v[20:21], v39, v[24:27], s[20:21] offset:32 glc
	s_waitcnt vmcnt(0)
	v_cmp_ne_u64_e32 vcc, v[20:21], v[26:27]
	s_and_saveexec_b64 s[30:31], vcc
	s_cbranch_execz .LBB0_285
; %bb.283:                              ;   in Loop: Header=BB0_230 Depth=2
	s_mov_b64 s[34:35], 0
.LBB0_284:                              ;   Parent Loop BB0_42 Depth=1
                                        ;     Parent Loop BB0_230 Depth=2
                                        ; =>    This Inner Loop Header: Depth=3
	s_sleep 1
	global_store_dwordx2 v[22:23], v[20:21], off
	v_mov_b32_e32 v18, s26
	v_mov_b32_e32 v19, s27
	buffer_wbl2
	s_waitcnt vmcnt(0)
	global_atomic_cmpswap_x2 v[18:19], v39, v[18:21], s[20:21] offset:32 glc
	s_waitcnt vmcnt(0)
	v_cmp_eq_u64_e32 vcc, v[18:19], v[20:21]
	s_or_b64 s[34:35], vcc, s[34:35]
	v_pk_mov_b32 v[20:21], v[18:19], v[18:19] op_sel:[0,1]
	s_andn2_b64 exec, exec, s[34:35]
	s_cbranch_execnz .LBB0_284
.LBB0_285:                              ;   in Loop: Header=BB0_230 Depth=2
	s_or_b64 exec, exec, s[30:31]
	global_load_dwordx2 v[18:19], v39, s[20:21] offset:16
	s_mov_b64 s[34:35], exec
	v_mbcnt_lo_u32_b32 v9, s34, 0
	v_mbcnt_hi_u32_b32 v9, s35, v9
	v_cmp_eq_u32_e32 vcc, 0, v9
	s_and_saveexec_b64 s[30:31], vcc
	s_cbranch_execz .LBB0_287
; %bb.286:                              ;   in Loop: Header=BB0_230 Depth=2
	s_bcnt1_i32_b64 s13, s[34:35]
	v_mov_b32_e32 v10, s13
	buffer_wbl2
	s_waitcnt vmcnt(0)
	global_atomic_add_x2 v[18:19], v[10:11], off offset:8
.LBB0_287:                              ;   in Loop: Header=BB0_230 Depth=2
	s_or_b64 exec, exec, s[30:31]
	s_waitcnt vmcnt(0)
	global_load_dwordx2 v[20:21], v[18:19], off offset:16
	s_waitcnt vmcnt(0)
	v_cmp_eq_u64_e32 vcc, 0, v[20:21]
	s_cbranch_vccnz .LBB0_289
; %bb.288:                              ;   in Loop: Header=BB0_230 Depth=2
	global_load_dword v38, v[18:19], off offset:24
	s_waitcnt vmcnt(0)
	v_and_b32_e32 v9, 0xffffff, v38
	v_readfirstlane_b32 m0, v9
	buffer_wbl2
	global_store_dwordx2 v[20:21], v[38:39], off
	s_sendmsg sendmsg(MSG_INTERRUPT)
.LBB0_289:                              ;   in Loop: Header=BB0_230 Depth=2
	s_or_b64 exec, exec, s[28:29]
	v_add_co_u32_e32 v12, vcc, v12, v54
	v_addc_co_u32_e32 v13, vcc, 0, v7, vcc
	s_branch .LBB0_291
.LBB0_290:                              ;   in Loop: Header=BB0_230 Depth=2
	s_branch .LBB0_295
.LBB0_291:                              ;   Parent Loop BB0_42 Depth=1
                                        ;     Parent Loop BB0_230 Depth=2
                                        ; =>    This Inner Loop Header: Depth=3
	v_mov_b32_e32 v7, 1
	s_and_saveexec_b64 s[28:29], s[6:7]
	s_cbranch_execz .LBB0_293
; %bb.292:                              ;   in Loop: Header=BB0_291 Depth=3
	global_load_dword v7, v[48:49], off offset:20 glc
	s_waitcnt vmcnt(0)
	buffer_invl2
	buffer_wbinvl1_vol
	v_and_b32_e32 v7, 1, v7
.LBB0_293:                              ;   in Loop: Header=BB0_291 Depth=3
	s_or_b64 exec, exec, s[28:29]
	v_readfirstlane_b32 s13, v7
	s_cmp_eq_u32 s13, 0
	s_cbranch_scc1 .LBB0_290
; %bb.294:                              ;   in Loop: Header=BB0_291 Depth=3
	s_sleep 1
	s_cbranch_execnz .LBB0_291
.LBB0_295:                              ;   in Loop: Header=BB0_230 Depth=2
	global_load_dwordx4 v[18:21], v[12:13], off
	s_and_saveexec_b64 s[28:29], s[6:7]
	s_cbranch_execz .LBB0_229
; %bb.296:                              ;   in Loop: Header=BB0_230 Depth=2
	global_load_dwordx2 v[12:13], v39, s[20:21] offset:40
	global_load_dwordx2 v[24:25], v39, s[20:21] offset:24 glc
	global_load_dwordx2 v[26:27], v39, s[20:21]
	v_mov_b32_e32 v7, s27
	s_waitcnt vmcnt(2)
	v_add_co_u32_e32 v9, vcc, 1, v12
	v_addc_co_u32_e32 v10, vcc, 0, v13, vcc
	v_add_co_u32_e32 v20, vcc, s26, v9
	v_addc_co_u32_e32 v21, vcc, v10, v7, vcc
	v_cmp_eq_u64_e32 vcc, 0, v[20:21]
	v_cndmask_b32_e32 v21, v21, v10, vcc
	v_cndmask_b32_e32 v20, v20, v9, vcc
	v_and_b32_e32 v7, v21, v13
	v_and_b32_e32 v9, v20, v12
	v_mul_lo_u32 v7, v7, 24
	v_mul_hi_u32 v10, v9, 24
	v_mul_lo_u32 v9, v9, 24
	v_add_u32_e32 v7, v10, v7
	s_waitcnt vmcnt(0)
	v_add_co_u32_e32 v12, vcc, v26, v9
	v_addc_co_u32_e32 v13, vcc, v27, v7, vcc
	v_mov_b32_e32 v22, v24
	global_store_dwordx2 v[12:13], v[24:25], off
	v_mov_b32_e32 v23, v25
	buffer_wbl2
	s_waitcnt vmcnt(0)
	global_atomic_cmpswap_x2 v[22:23], v39, v[20:23], s[20:21] offset:24 glc
	s_waitcnt vmcnt(0)
	v_cmp_ne_u64_e32 vcc, v[22:23], v[24:25]
	s_and_b64 exec, exec, vcc
	s_cbranch_execz .LBB0_229
; %bb.297:                              ;   in Loop: Header=BB0_230 Depth=2
	s_mov_b64 s[6:7], 0
.LBB0_298:                              ;   Parent Loop BB0_42 Depth=1
                                        ;     Parent Loop BB0_230 Depth=2
                                        ; =>    This Inner Loop Header: Depth=3
	s_sleep 1
	global_store_dwordx2 v[12:13], v[22:23], off
	buffer_wbl2
	s_waitcnt vmcnt(0)
	global_atomic_cmpswap_x2 v[24:25], v39, v[20:23], s[20:21] offset:24 glc
	s_waitcnt vmcnt(0)
	v_cmp_eq_u64_e32 vcc, v[24:25], v[22:23]
	s_or_b64 s[6:7], vcc, s[6:7]
	v_pk_mov_b32 v[22:23], v[24:25], v[24:25] op_sel:[0,1]
	s_andn2_b64 exec, exec, s[6:7]
	s_cbranch_execnz .LBB0_298
	s_branch .LBB0_229
.LBB0_299:                              ;   in Loop: Header=BB0_230 Depth=2
                                        ; implicit-def: $vgpr22_vgpr23
                                        ; implicit-def: $sgpr30
	s_branch .LBB0_242
.LBB0_300:                              ;   in Loop: Header=BB0_230 Depth=2
                                        ; implicit-def: $sgpr13
	s_branch .LBB0_248
.LBB0_301:                              ;   in Loop: Header=BB0_230 Depth=2
                                        ; implicit-def: $vgpr26_vgpr27
                                        ; implicit-def: $sgpr30
	s_branch .LBB0_254
.LBB0_302:                              ;   in Loop: Header=BB0_230 Depth=2
                                        ; implicit-def: $sgpr13
	s_branch .LBB0_260
.LBB0_303:                              ;   in Loop: Header=BB0_230 Depth=2
                                        ; implicit-def: $vgpr30_vgpr31
                                        ; implicit-def: $sgpr30
	s_branch .LBB0_266
.LBB0_304:                              ;   in Loop: Header=BB0_230 Depth=2
	s_branch .LBB0_272
.LBB0_305:                              ;   in Loop: Header=BB0_230 Depth=2
	v_pk_mov_b32 v[22:23], 0, 0
	s_mov_b32 s30, 0
	s_cbranch_execnz .LBB0_243
	s_branch .LBB0_242
.LBB0_306:                              ;   in Loop: Header=BB0_230 Depth=2
	v_pk_mov_b32 v[24:25], 0, 0
	s_mov_b32 s13, 0
	s_cbranch_execnz .LBB0_249
	s_branch .LBB0_248
.LBB0_307:                              ;   in Loop: Header=BB0_230 Depth=2
	v_pk_mov_b32 v[26:27], 0, 0
	s_mov_b32 s30, 0
	s_cbranch_execnz .LBB0_255
	s_branch .LBB0_254
.LBB0_308:                              ;   in Loop: Header=BB0_230 Depth=2
	v_pk_mov_b32 v[28:29], 0, 0
	s_mov_b32 s13, 0
	s_cbranch_execnz .LBB0_261
	s_branch .LBB0_260
.LBB0_309:                              ;   in Loop: Header=BB0_230 Depth=2
	v_pk_mov_b32 v[30:31], 0, 0
	s_mov_b32 s30, 0
	s_cbranch_execnz .LBB0_267
	s_branch .LBB0_266
.LBB0_310:                              ;   in Loop: Header=BB0_230 Depth=2
	v_pk_mov_b32 v[32:33], 0, 0
	s_cbranch_execnz .LBB0_273
	s_branch .LBB0_272
.LBB0_311:                              ;   in Loop: Header=BB0_42 Depth=1
	s_branch .LBB0_340
.LBB0_312:                              ;   in Loop: Header=BB0_42 Depth=1
	s_cbranch_execz .LBB0_340
; %bb.313:                              ;   in Loop: Header=BB0_42 Depth=1
	v_readfirstlane_b32 s6, v51
	v_cmp_eq_u32_e64 s[6:7], s6, v51
	v_pk_mov_b32 v[12:13], 0, 0
	s_and_saveexec_b64 s[14:15], s[6:7]
	s_cbranch_execz .LBB0_319
; %bb.314:                              ;   in Loop: Header=BB0_42 Depth=1
	global_load_dwordx2 v[20:21], v39, s[20:21] offset:24 glc
	s_waitcnt vmcnt(0)
	buffer_invl2
	buffer_wbinvl1_vol
	global_load_dwordx2 v[12:13], v39, s[20:21] offset:40
	global_load_dwordx2 v[18:19], v39, s[20:21]
	s_waitcnt vmcnt(1)
	v_and_b32_e32 v7, v12, v20
	v_and_b32_e32 v9, v13, v21
	v_mul_lo_u32 v9, v9, 24
	v_mul_hi_u32 v10, v7, 24
	v_mul_lo_u32 v7, v7, 24
	v_add_u32_e32 v9, v10, v9
	s_waitcnt vmcnt(0)
	v_add_co_u32_e32 v12, vcc, v18, v7
	v_addc_co_u32_e32 v13, vcc, v19, v9, vcc
	global_load_dwordx2 v[18:19], v[12:13], off glc
	s_waitcnt vmcnt(0)
	global_atomic_cmpswap_x2 v[12:13], v39, v[18:21], s[20:21] offset:24 glc
	s_waitcnt vmcnt(0)
	buffer_invl2
	buffer_wbinvl1_vol
	v_cmp_ne_u64_e32 vcc, v[12:13], v[20:21]
	s_and_saveexec_b64 s[22:23], vcc
	s_cbranch_execz .LBB0_318
; %bb.315:                              ;   in Loop: Header=BB0_42 Depth=1
	s_mov_b64 s[24:25], 0
.LBB0_316:                              ;   Parent Loop BB0_42 Depth=1
                                        ; =>  This Inner Loop Header: Depth=2
	s_sleep 1
	global_load_dwordx2 v[18:19], v39, s[20:21] offset:40
	global_load_dwordx2 v[22:23], v39, s[20:21]
	v_pk_mov_b32 v[20:21], v[12:13], v[12:13] op_sel:[0,1]
	s_waitcnt vmcnt(1)
	v_and_b32_e32 v9, v18, v20
	s_waitcnt vmcnt(0)
	v_mad_u64_u32 v[12:13], s[26:27], v9, 24, v[22:23]
	v_and_b32_e32 v7, v19, v21
	v_mov_b32_e32 v10, v13
	v_mad_u64_u32 v[18:19], s[26:27], v7, 24, v[10:11]
	v_mov_b32_e32 v13, v18
	global_load_dwordx2 v[18:19], v[12:13], off glc
	s_waitcnt vmcnt(0)
	global_atomic_cmpswap_x2 v[12:13], v39, v[18:21], s[20:21] offset:24 glc
	s_waitcnt vmcnt(0)
	buffer_invl2
	buffer_wbinvl1_vol
	v_cmp_eq_u64_e32 vcc, v[12:13], v[20:21]
	s_or_b64 s[24:25], vcc, s[24:25]
	s_andn2_b64 exec, exec, s[24:25]
	s_cbranch_execnz .LBB0_316
; %bb.317:                              ;   in Loop: Header=BB0_42 Depth=1
	s_or_b64 exec, exec, s[24:25]
.LBB0_318:                              ;   in Loop: Header=BB0_42 Depth=1
	s_or_b64 exec, exec, s[22:23]
.LBB0_319:                              ;   in Loop: Header=BB0_42 Depth=1
	s_or_b64 exec, exec, s[14:15]
	global_load_dwordx2 v[18:19], v39, s[20:21] offset:40
	global_load_dwordx4 v[20:23], v39, s[20:21]
	v_readfirstlane_b32 s22, v12
	v_readfirstlane_b32 s23, v13
	s_mov_b64 s[14:15], exec
	s_waitcnt vmcnt(1)
	v_readfirstlane_b32 s24, v18
	v_readfirstlane_b32 s25, v19
	s_and_b64 s[24:25], s[22:23], s[24:25]
	s_mul_i32 s13, s25, 24
	s_mul_hi_u32 s26, s24, 24
	s_mul_i32 s27, s24, 24
	s_add_i32 s13, s26, s13
	v_mov_b32_e32 v7, s13
	s_waitcnt vmcnt(0)
	v_add_co_u32_e32 v24, vcc, s27, v20
	v_addc_co_u32_e32 v25, vcc, v21, v7, vcc
	s_and_saveexec_b64 s[26:27], s[6:7]
	s_cbranch_execz .LBB0_321
; %bb.320:                              ;   in Loop: Header=BB0_42 Depth=1
	v_pk_mov_b32 v[12:13], s[14:15], s[14:15] op_sel:[0,1]
	global_store_dwordx4 v[24:25], v[12:15], off offset:8
.LBB0_321:                              ;   in Loop: Header=BB0_42 Depth=1
	s_or_b64 exec, exec, s[26:27]
	s_lshl_b64 s[14:15], s[24:25], 12
	v_mov_b32_e32 v7, s15
	v_add_co_u32_e32 v10, vcc, s14, v22
	v_addc_co_u32_e32 v7, vcc, v23, v7, vcc
	v_and_or_b32 v16, v16, s36, 34
	v_mov_b32_e32 v18, v11
	v_mov_b32_e32 v19, v11
	v_readfirstlane_b32 s24, v10
	v_readfirstlane_b32 s25, v7
	s_mov_b32 s14, s12
	s_mov_b32 s15, s12
	;; [unrolled: 1-line block ×3, first 2 shown]
	s_nop 1
	global_store_dwordx4 v54, v[16:19], s[24:25]
	s_nop 0
	v_pk_mov_b32 v[18:19], s[14:15], s[14:15] op_sel:[0,1]
	v_pk_mov_b32 v[16:17], s[12:13], s[12:13] op_sel:[0,1]
	global_store_dwordx4 v54, v[16:19], s[24:25] offset:16
	global_store_dwordx4 v54, v[16:19], s[24:25] offset:32
	;; [unrolled: 1-line block ×3, first 2 shown]
	s_and_saveexec_b64 s[14:15], s[6:7]
	s_cbranch_execz .LBB0_329
; %bb.322:                              ;   in Loop: Header=BB0_42 Depth=1
	global_load_dwordx2 v[28:29], v39, s[20:21] offset:32 glc
	global_load_dwordx2 v[12:13], v39, s[20:21] offset:40
	v_mov_b32_e32 v26, s22
	v_mov_b32_e32 v27, s23
	s_waitcnt vmcnt(0)
	v_readfirstlane_b32 s24, v12
	v_readfirstlane_b32 s25, v13
	s_and_b64 s[24:25], s[24:25], s[22:23]
	s_mul_i32 s13, s25, 24
	s_mul_hi_u32 s25, s24, 24
	s_mul_i32 s24, s24, 24
	s_add_i32 s13, s25, s13
	v_mov_b32_e32 v7, s13
	v_add_co_u32_e32 v12, vcc, s24, v20
	v_addc_co_u32_e32 v13, vcc, v21, v7, vcc
	global_store_dwordx2 v[12:13], v[28:29], off
	buffer_wbl2
	s_waitcnt vmcnt(0)
	global_atomic_cmpswap_x2 v[18:19], v39, v[26:29], s[20:21] offset:32 glc
	s_waitcnt vmcnt(0)
	v_cmp_ne_u64_e32 vcc, v[18:19], v[28:29]
	s_and_saveexec_b64 s[24:25], vcc
	s_cbranch_execz .LBB0_325
; %bb.323:                              ;   in Loop: Header=BB0_42 Depth=1
	s_mov_b64 s[26:27], 0
.LBB0_324:                              ;   Parent Loop BB0_42 Depth=1
                                        ; =>  This Inner Loop Header: Depth=2
	s_sleep 1
	global_store_dwordx2 v[12:13], v[18:19], off
	v_mov_b32_e32 v16, s22
	v_mov_b32_e32 v17, s23
	buffer_wbl2
	s_waitcnt vmcnt(0)
	global_atomic_cmpswap_x2 v[16:17], v39, v[16:19], s[20:21] offset:32 glc
	s_waitcnt vmcnt(0)
	v_cmp_eq_u64_e32 vcc, v[16:17], v[18:19]
	s_or_b64 s[26:27], vcc, s[26:27]
	v_pk_mov_b32 v[18:19], v[16:17], v[16:17] op_sel:[0,1]
	s_andn2_b64 exec, exec, s[26:27]
	s_cbranch_execnz .LBB0_324
.LBB0_325:                              ;   in Loop: Header=BB0_42 Depth=1
	s_or_b64 exec, exec, s[24:25]
	global_load_dwordx2 v[12:13], v39, s[20:21] offset:16
	s_mov_b64 s[26:27], exec
	v_mbcnt_lo_u32_b32 v7, s26, 0
	v_mbcnt_hi_u32_b32 v7, s27, v7
	v_cmp_eq_u32_e32 vcc, 0, v7
	s_and_saveexec_b64 s[24:25], vcc
	s_cbranch_execz .LBB0_327
; %bb.326:                              ;   in Loop: Header=BB0_42 Depth=1
	s_bcnt1_i32_b64 s13, s[26:27]
	v_mov_b32_e32 v10, s13
	buffer_wbl2
	s_waitcnt vmcnt(0)
	global_atomic_add_x2 v[12:13], v[10:11], off offset:8
.LBB0_327:                              ;   in Loop: Header=BB0_42 Depth=1
	s_or_b64 exec, exec, s[24:25]
	s_waitcnt vmcnt(0)
	global_load_dwordx2 v[16:17], v[12:13], off offset:16
	s_waitcnt vmcnt(0)
	v_cmp_eq_u64_e32 vcc, 0, v[16:17]
	s_cbranch_vccnz .LBB0_329
; %bb.328:                              ;   in Loop: Header=BB0_42 Depth=1
	global_load_dword v38, v[12:13], off offset:24
	s_waitcnt vmcnt(0)
	v_and_b32_e32 v7, 0xffffff, v38
	v_readfirstlane_b32 m0, v7
	buffer_wbl2
	global_store_dwordx2 v[16:17], v[38:39], off
	s_sendmsg sendmsg(MSG_INTERRUPT)
.LBB0_329:                              ;   in Loop: Header=BB0_42 Depth=1
	s_or_b64 exec, exec, s[14:15]
	s_branch .LBB0_331
.LBB0_330:                              ;   in Loop: Header=BB0_42 Depth=1
	s_branch .LBB0_335
.LBB0_331:                              ;   Parent Loop BB0_42 Depth=1
                                        ; =>  This Inner Loop Header: Depth=2
	v_mov_b32_e32 v7, 1
	s_and_saveexec_b64 s[14:15], s[6:7]
	s_cbranch_execz .LBB0_333
; %bb.332:                              ;   in Loop: Header=BB0_331 Depth=2
	global_load_dword v7, v[24:25], off offset:20 glc
	s_waitcnt vmcnt(0)
	buffer_invl2
	buffer_wbinvl1_vol
	v_and_b32_e32 v7, 1, v7
.LBB0_333:                              ;   in Loop: Header=BB0_331 Depth=2
	s_or_b64 exec, exec, s[14:15]
	v_readfirstlane_b32 s13, v7
	s_cmp_eq_u32 s13, 0
	s_cbranch_scc1 .LBB0_330
; %bb.334:                              ;   in Loop: Header=BB0_331 Depth=2
	s_sleep 1
	s_cbranch_execnz .LBB0_331
.LBB0_335:                              ;   in Loop: Header=BB0_42 Depth=1
	s_and_saveexec_b64 s[14:15], s[6:7]
	s_cbranch_execz .LBB0_339
; %bb.336:                              ;   in Loop: Header=BB0_42 Depth=1
	global_load_dwordx2 v[12:13], v39, s[20:21] offset:40
	global_load_dwordx2 v[20:21], v39, s[20:21] offset:24 glc
	global_load_dwordx2 v[22:23], v39, s[20:21]
	v_mov_b32_e32 v7, s23
	s_waitcnt vmcnt(2)
	v_add_co_u32_e32 v9, vcc, 1, v12
	v_addc_co_u32_e32 v10, vcc, 0, v13, vcc
	v_add_co_u32_e32 v16, vcc, s22, v9
	v_addc_co_u32_e32 v17, vcc, v10, v7, vcc
	v_cmp_eq_u64_e32 vcc, 0, v[16:17]
	v_cndmask_b32_e32 v17, v17, v10, vcc
	v_cndmask_b32_e32 v16, v16, v9, vcc
	v_and_b32_e32 v7, v17, v13
	v_and_b32_e32 v9, v16, v12
	v_mul_lo_u32 v7, v7, 24
	v_mul_hi_u32 v10, v9, 24
	v_mul_lo_u32 v9, v9, 24
	v_add_u32_e32 v7, v10, v7
	s_waitcnt vmcnt(0)
	v_add_co_u32_e32 v12, vcc, v22, v9
	v_addc_co_u32_e32 v13, vcc, v23, v7, vcc
	v_mov_b32_e32 v18, v20
	global_store_dwordx2 v[12:13], v[20:21], off
	v_mov_b32_e32 v19, v21
	buffer_wbl2
	s_waitcnt vmcnt(0)
	global_atomic_cmpswap_x2 v[18:19], v39, v[16:19], s[20:21] offset:24 glc
	s_waitcnt vmcnt(0)
	v_cmp_ne_u64_e32 vcc, v[18:19], v[20:21]
	s_and_b64 exec, exec, vcc
	s_cbranch_execz .LBB0_339
; %bb.337:                              ;   in Loop: Header=BB0_42 Depth=1
	s_mov_b64 s[6:7], 0
.LBB0_338:                              ;   Parent Loop BB0_42 Depth=1
                                        ; =>  This Inner Loop Header: Depth=2
	s_sleep 1
	global_store_dwordx2 v[12:13], v[18:19], off
	buffer_wbl2
	s_waitcnt vmcnt(0)
	global_atomic_cmpswap_x2 v[20:21], v39, v[16:19], s[20:21] offset:24 glc
	s_waitcnt vmcnt(0)
	v_cmp_eq_u64_e32 vcc, v[20:21], v[18:19]
	s_or_b64 s[6:7], vcc, s[6:7]
	v_pk_mov_b32 v[18:19], v[20:21], v[20:21] op_sel:[0,1]
	s_andn2_b64 exec, exec, s[6:7]
	s_cbranch_execnz .LBB0_338
.LBB0_339:                              ;   in Loop: Header=BB0_42 Depth=1
	s_or_b64 exec, exec, s[14:15]
.LBB0_340:                              ;   in Loop: Header=BB0_42 Depth=1
	v_readfirstlane_b32 s6, v51
	v_cmp_eq_u32_e64 s[6:7], s6, v51
	v_pk_mov_b32 v[12:13], 0, 0
	s_and_saveexec_b64 s[14:15], s[6:7]
	s_cbranch_execz .LBB0_346
; %bb.341:                              ;   in Loop: Header=BB0_42 Depth=1
	global_load_dwordx2 v[18:19], v39, s[20:21] offset:24 glc
	s_waitcnt vmcnt(0)
	buffer_invl2
	buffer_wbinvl1_vol
	global_load_dwordx2 v[12:13], v39, s[20:21] offset:40
	global_load_dwordx2 v[16:17], v39, s[20:21]
	s_waitcnt vmcnt(1)
	v_and_b32_e32 v7, v12, v18
	v_and_b32_e32 v9, v13, v19
	v_mul_lo_u32 v9, v9, 24
	v_mul_hi_u32 v10, v7, 24
	v_mul_lo_u32 v7, v7, 24
	v_add_u32_e32 v9, v10, v9
	s_waitcnt vmcnt(0)
	v_add_co_u32_e32 v12, vcc, v16, v7
	v_addc_co_u32_e32 v13, vcc, v17, v9, vcc
	global_load_dwordx2 v[16:17], v[12:13], off glc
	s_waitcnt vmcnt(0)
	global_atomic_cmpswap_x2 v[12:13], v39, v[16:19], s[20:21] offset:24 glc
	s_waitcnt vmcnt(0)
	buffer_invl2
	buffer_wbinvl1_vol
	v_cmp_ne_u64_e32 vcc, v[12:13], v[18:19]
	s_and_saveexec_b64 s[22:23], vcc
	s_cbranch_execz .LBB0_345
; %bb.342:                              ;   in Loop: Header=BB0_42 Depth=1
	s_mov_b64 s[24:25], 0
.LBB0_343:                              ;   Parent Loop BB0_42 Depth=1
                                        ; =>  This Inner Loop Header: Depth=2
	s_sleep 1
	global_load_dwordx2 v[16:17], v39, s[20:21] offset:40
	global_load_dwordx2 v[20:21], v39, s[20:21]
	v_pk_mov_b32 v[18:19], v[12:13], v[12:13] op_sel:[0,1]
	s_waitcnt vmcnt(1)
	v_and_b32_e32 v9, v16, v18
	s_waitcnt vmcnt(0)
	v_mad_u64_u32 v[12:13], s[26:27], v9, 24, v[20:21]
	v_and_b32_e32 v7, v17, v19
	v_mov_b32_e32 v10, v13
	v_mad_u64_u32 v[16:17], s[26:27], v7, 24, v[10:11]
	v_mov_b32_e32 v13, v16
	global_load_dwordx2 v[16:17], v[12:13], off glc
	s_waitcnt vmcnt(0)
	global_atomic_cmpswap_x2 v[12:13], v39, v[16:19], s[20:21] offset:24 glc
	s_waitcnt vmcnt(0)
	buffer_invl2
	buffer_wbinvl1_vol
	v_cmp_eq_u64_e32 vcc, v[12:13], v[18:19]
	s_or_b64 s[24:25], vcc, s[24:25]
	s_andn2_b64 exec, exec, s[24:25]
	s_cbranch_execnz .LBB0_343
; %bb.344:                              ;   in Loop: Header=BB0_42 Depth=1
	s_or_b64 exec, exec, s[24:25]
.LBB0_345:                              ;   in Loop: Header=BB0_42 Depth=1
	s_or_b64 exec, exec, s[22:23]
.LBB0_346:                              ;   in Loop: Header=BB0_42 Depth=1
	s_or_b64 exec, exec, s[14:15]
	global_load_dwordx2 v[20:21], v39, s[20:21] offset:40
	global_load_dwordx4 v[16:19], v39, s[20:21]
	v_readfirstlane_b32 s22, v12
	v_readfirstlane_b32 s23, v13
	s_mov_b64 s[14:15], exec
	s_waitcnt vmcnt(1)
	v_readfirstlane_b32 s24, v20
	v_readfirstlane_b32 s25, v21
	s_and_b64 s[24:25], s[22:23], s[24:25]
	s_mul_i32 s13, s25, 24
	s_mul_hi_u32 s26, s24, 24
	s_mul_i32 s27, s24, 24
	s_add_i32 s13, s26, s13
	v_mov_b32_e32 v7, s13
	s_waitcnt vmcnt(0)
	v_add_co_u32_e32 v20, vcc, s27, v16
	v_addc_co_u32_e32 v21, vcc, v17, v7, vcc
	s_and_saveexec_b64 s[26:27], s[6:7]
	s_cbranch_execz .LBB0_348
; %bb.347:                              ;   in Loop: Header=BB0_42 Depth=1
	v_pk_mov_b32 v[12:13], s[14:15], s[14:15] op_sel:[0,1]
	global_store_dwordx4 v[20:21], v[12:15], off offset:8
.LBB0_348:                              ;   in Loop: Header=BB0_42 Depth=1
	s_or_b64 exec, exec, s[26:27]
	s_lshl_b64 s[14:15], s[24:25], 12
	v_mov_b32_e32 v7, s15
	v_add_co_u32_e32 v12, vcc, s14, v18
	s_mov_b32 s14, s12
	s_mov_b32 s15, s12
	v_addc_co_u32_e32 v7, vcc, v19, v7, vcc
	s_mov_b32 s13, s12
	v_pk_mov_b32 v[24:25], s[14:15], s[14:15] op_sel:[0,1]
	v_mov_b32_e32 v9, v11
	v_mov_b32_e32 v10, v11
	v_readfirstlane_b32 s24, v12
	v_readfirstlane_b32 s25, v7
	v_pk_mov_b32 v[22:23], s[12:13], s[12:13] op_sel:[0,1]
	s_nop 3
	global_store_dwordx4 v54, v[8:11], s[24:25]
	global_store_dwordx4 v54, v[22:25], s[24:25] offset:16
	global_store_dwordx4 v54, v[22:25], s[24:25] offset:32
	;; [unrolled: 1-line block ×3, first 2 shown]
	s_and_saveexec_b64 s[14:15], s[6:7]
	s_cbranch_execz .LBB0_356
; %bb.349:                              ;   in Loop: Header=BB0_42 Depth=1
	global_load_dwordx2 v[26:27], v39, s[20:21] offset:32 glc
	global_load_dwordx2 v[18:19], v39, s[20:21] offset:40
	v_mov_b32_e32 v24, s22
	v_mov_b32_e32 v25, s23
	s_waitcnt vmcnt(0)
	v_readfirstlane_b32 s24, v18
	v_readfirstlane_b32 s25, v19
	s_and_b64 s[24:25], s[24:25], s[22:23]
	s_mul_i32 s13, s25, 24
	s_mul_hi_u32 s25, s24, 24
	s_mul_i32 s24, s24, 24
	s_add_i32 s13, s25, s13
	v_mov_b32_e32 v9, s13
	v_add_co_u32_e32 v22, vcc, s24, v16
	v_addc_co_u32_e32 v23, vcc, v17, v9, vcc
	global_store_dwordx2 v[22:23], v[26:27], off
	buffer_wbl2
	s_waitcnt vmcnt(0)
	global_atomic_cmpswap_x2 v[18:19], v39, v[24:27], s[20:21] offset:32 glc
	s_waitcnt vmcnt(0)
	v_cmp_ne_u64_e32 vcc, v[18:19], v[26:27]
	s_and_saveexec_b64 s[24:25], vcc
	s_cbranch_execz .LBB0_352
; %bb.350:                              ;   in Loop: Header=BB0_42 Depth=1
	s_mov_b64 s[26:27], 0
.LBB0_351:                              ;   Parent Loop BB0_42 Depth=1
                                        ; =>  This Inner Loop Header: Depth=2
	s_sleep 1
	global_store_dwordx2 v[22:23], v[18:19], off
	v_mov_b32_e32 v16, s22
	v_mov_b32_e32 v17, s23
	buffer_wbl2
	s_waitcnt vmcnt(0)
	global_atomic_cmpswap_x2 v[16:17], v39, v[16:19], s[20:21] offset:32 glc
	s_waitcnt vmcnt(0)
	v_cmp_eq_u64_e32 vcc, v[16:17], v[18:19]
	s_or_b64 s[26:27], vcc, s[26:27]
	v_pk_mov_b32 v[18:19], v[16:17], v[16:17] op_sel:[0,1]
	s_andn2_b64 exec, exec, s[26:27]
	s_cbranch_execnz .LBB0_351
.LBB0_352:                              ;   in Loop: Header=BB0_42 Depth=1
	s_or_b64 exec, exec, s[24:25]
	global_load_dwordx2 v[16:17], v39, s[20:21] offset:16
	s_mov_b64 s[26:27], exec
	v_mbcnt_lo_u32_b32 v9, s26, 0
	v_mbcnt_hi_u32_b32 v9, s27, v9
	v_cmp_eq_u32_e32 vcc, 0, v9
	s_and_saveexec_b64 s[24:25], vcc
	s_cbranch_execz .LBB0_354
; %bb.353:                              ;   in Loop: Header=BB0_42 Depth=1
	s_bcnt1_i32_b64 s13, s[26:27]
	v_mov_b32_e32 v10, s13
	buffer_wbl2
	s_waitcnt vmcnt(0)
	global_atomic_add_x2 v[16:17], v[10:11], off offset:8
.LBB0_354:                              ;   in Loop: Header=BB0_42 Depth=1
	s_or_b64 exec, exec, s[24:25]
	s_waitcnt vmcnt(0)
	global_load_dwordx2 v[18:19], v[16:17], off offset:16
	s_waitcnt vmcnt(0)
	v_cmp_eq_u64_e32 vcc, 0, v[18:19]
	s_cbranch_vccnz .LBB0_356
; %bb.355:                              ;   in Loop: Header=BB0_42 Depth=1
	global_load_dword v38, v[16:17], off offset:24
	s_waitcnt vmcnt(0)
	v_and_b32_e32 v9, 0xffffff, v38
	v_readfirstlane_b32 m0, v9
	buffer_wbl2
	global_store_dwordx2 v[18:19], v[38:39], off
	s_sendmsg sendmsg(MSG_INTERRUPT)
.LBB0_356:                              ;   in Loop: Header=BB0_42 Depth=1
	s_or_b64 exec, exec, s[14:15]
	v_add_co_u32_e32 v12, vcc, v12, v54
	v_addc_co_u32_e32 v13, vcc, 0, v7, vcc
	s_branch .LBB0_358
.LBB0_357:                              ;   in Loop: Header=BB0_42 Depth=1
	s_branch .LBB0_362
.LBB0_358:                              ;   Parent Loop BB0_42 Depth=1
                                        ; =>  This Inner Loop Header: Depth=2
	v_mov_b32_e32 v7, 1
	s_and_saveexec_b64 s[14:15], s[6:7]
	s_cbranch_execz .LBB0_360
; %bb.359:                              ;   in Loop: Header=BB0_358 Depth=2
	global_load_dword v7, v[20:21], off offset:20 glc
	s_waitcnt vmcnt(0)
	buffer_invl2
	buffer_wbinvl1_vol
	v_and_b32_e32 v7, 1, v7
.LBB0_360:                              ;   in Loop: Header=BB0_358 Depth=2
	s_or_b64 exec, exec, s[14:15]
	v_readfirstlane_b32 s13, v7
	s_cmp_eq_u32 s13, 0
	s_cbranch_scc1 .LBB0_357
; %bb.361:                              ;   in Loop: Header=BB0_358 Depth=2
	s_sleep 1
	s_cbranch_execnz .LBB0_358
.LBB0_362:                              ;   in Loop: Header=BB0_42 Depth=1
	global_load_dwordx2 v[16:17], v[12:13], off
	s_and_saveexec_b64 s[14:15], s[6:7]
	s_cbranch_execz .LBB0_366
; %bb.363:                              ;   in Loop: Header=BB0_42 Depth=1
	global_load_dwordx2 v[12:13], v39, s[20:21] offset:40
	global_load_dwordx2 v[22:23], v39, s[20:21] offset:24 glc
	global_load_dwordx2 v[24:25], v39, s[20:21]
	v_mov_b32_e32 v7, s23
	s_waitcnt vmcnt(2)
	v_add_co_u32_e32 v9, vcc, 1, v12
	v_addc_co_u32_e32 v10, vcc, 0, v13, vcc
	v_add_co_u32_e32 v18, vcc, s22, v9
	v_addc_co_u32_e32 v19, vcc, v10, v7, vcc
	v_cmp_eq_u64_e32 vcc, 0, v[18:19]
	v_cndmask_b32_e32 v19, v19, v10, vcc
	v_cndmask_b32_e32 v18, v18, v9, vcc
	v_and_b32_e32 v7, v19, v13
	v_and_b32_e32 v9, v18, v12
	v_mul_lo_u32 v7, v7, 24
	v_mul_hi_u32 v10, v9, 24
	v_mul_lo_u32 v9, v9, 24
	v_add_u32_e32 v7, v10, v7
	s_waitcnt vmcnt(0)
	v_add_co_u32_e32 v12, vcc, v24, v9
	v_addc_co_u32_e32 v13, vcc, v25, v7, vcc
	v_mov_b32_e32 v20, v22
	global_store_dwordx2 v[12:13], v[22:23], off
	v_mov_b32_e32 v21, v23
	buffer_wbl2
	s_waitcnt vmcnt(0)
	global_atomic_cmpswap_x2 v[20:21], v39, v[18:21], s[20:21] offset:24 glc
	s_waitcnt vmcnt(0)
	v_cmp_ne_u64_e32 vcc, v[20:21], v[22:23]
	s_and_b64 exec, exec, vcc
	s_cbranch_execz .LBB0_366
; %bb.364:                              ;   in Loop: Header=BB0_42 Depth=1
	s_mov_b64 s[6:7], 0
.LBB0_365:                              ;   Parent Loop BB0_42 Depth=1
                                        ; =>  This Inner Loop Header: Depth=2
	s_sleep 1
	global_store_dwordx2 v[12:13], v[20:21], off
	buffer_wbl2
	s_waitcnt vmcnt(0)
	global_atomic_cmpswap_x2 v[22:23], v39, v[18:21], s[20:21] offset:24 glc
	s_waitcnt vmcnt(0)
	v_cmp_eq_u64_e32 vcc, v[22:23], v[20:21]
	s_or_b64 s[6:7], vcc, s[6:7]
	v_pk_mov_b32 v[20:21], v[22:23], v[22:23] op_sel:[0,1]
	s_andn2_b64 exec, exec, s[6:7]
	s_cbranch_execnz .LBB0_365
.LBB0_366:                              ;   in Loop: Header=BB0_42 Depth=1
	s_or_b64 exec, exec, s[14:15]
	s_and_b64 vcc, exec, s[10:11]
	s_cbranch_vccz .LBB0_451
; %bb.367:                              ;   in Loop: Header=BB0_42 Depth=1
	s_waitcnt vmcnt(0)
	v_and_b32_e32 v18, -3, v16
	v_mov_b32_e32 v19, v17
	s_mov_b64 s[22:23], 39
	s_getpc_b64 s[14:15]
	s_add_u32 s14, s14, .str.2@rel32@lo+4
	s_addc_u32 s15, s15, .str.2@rel32@hi+12
	s_branch .LBB0_369
.LBB0_368:                              ;   in Loop: Header=BB0_369 Depth=2
	s_or_b64 exec, exec, s[28:29]
	s_sub_u32 s22, s22, s24
	s_subb_u32 s23, s23, s25
	s_add_u32 s14, s14, s24
	s_addc_u32 s15, s15, s25
	s_cmp_eq_u64 s[22:23], 0
	s_cbranch_scc1 .LBB0_450
.LBB0_369:                              ;   Parent Loop BB0_42 Depth=1
                                        ; =>  This Loop Header: Depth=2
                                        ;       Child Loop BB0_372 Depth 3
                                        ;       Child Loop BB0_379 Depth 3
	;; [unrolled: 1-line block ×11, first 2 shown]
	v_cmp_lt_u64_e64 s[6:7], s[22:23], 56
	s_and_b64 s[6:7], s[6:7], exec
	v_cmp_gt_u64_e64 s[6:7], s[22:23], 7
	s_cselect_b32 s25, s23, 0
	s_cselect_b32 s24, s22, 56
	s_and_b64 vcc, exec, s[6:7]
	s_cbranch_vccnz .LBB0_374
; %bb.370:                              ;   in Loop: Header=BB0_369 Depth=2
	s_mov_b64 s[6:7], 0
	s_cmp_eq_u64 s[22:23], 0
	s_waitcnt vmcnt(0)
	v_pk_mov_b32 v[20:21], 0, 0
	s_cbranch_scc1 .LBB0_373
; %bb.371:                              ;   in Loop: Header=BB0_369 Depth=2
	s_lshl_b64 s[26:27], s[24:25], 3
	s_mov_b64 s[28:29], 0
	v_pk_mov_b32 v[20:21], 0, 0
	s_mov_b64 vcc, s[14:15]
.LBB0_372:                              ;   Parent Loop BB0_42 Depth=1
                                        ;     Parent Loop BB0_369 Depth=2
                                        ; =>    This Inner Loop Header: Depth=3
	global_load_ubyte v7, v39, vcc
	s_waitcnt vmcnt(0)
	v_and_b32_e32 v38, 0xffff, v7
	v_lshlrev_b64 v[12:13], s28, v[38:39]
	s_add_u32 s28, s28, 8
	s_addc_u32 s29, s29, 0
	s_add_u32 vcc_lo, vcc_lo, 1
	s_addc_u32 vcc_hi, vcc_hi, 0
	v_or_b32_e32 v20, v12, v20
	s_cmp_lg_u32 s26, s28
	v_or_b32_e32 v21, v13, v21
	s_cbranch_scc1 .LBB0_372
.LBB0_373:                              ;   in Loop: Header=BB0_369 Depth=2
	s_mov_b32 s13, 0
	s_andn2_b64 vcc, exec, s[6:7]
	s_mov_b64 s[6:7], s[14:15]
	s_cbranch_vccz .LBB0_375
	s_branch .LBB0_376
.LBB0_374:                              ;   in Loop: Header=BB0_369 Depth=2
                                        ; implicit-def: $sgpr13
	s_mov_b64 s[6:7], s[14:15]
.LBB0_375:                              ;   in Loop: Header=BB0_369 Depth=2
	global_load_dwordx2 v[20:21], v39, s[14:15]
	s_add_i32 s13, s24, -8
	s_add_u32 s6, s14, 8
	s_addc_u32 s7, s15, 0
.LBB0_376:                              ;   in Loop: Header=BB0_369 Depth=2
	s_cmp_gt_u32 s13, 7
	s_cbranch_scc1 .LBB0_438
; %bb.377:                              ;   in Loop: Header=BB0_369 Depth=2
	s_cmp_eq_u32 s13, 0
	s_cbranch_scc1 .LBB0_444
; %bb.378:                              ;   in Loop: Header=BB0_369 Depth=2
	s_mov_b64 s[26:27], 0
	v_pk_mov_b32 v[22:23], 0, 0
	s_mov_b64 s[28:29], 0
.LBB0_379:                              ;   Parent Loop BB0_42 Depth=1
                                        ;     Parent Loop BB0_369 Depth=2
                                        ; =>    This Inner Loop Header: Depth=3
	s_add_u32 vcc_lo, s6, s28
	s_addc_u32 vcc_hi, s7, s29
	global_load_ubyte v7, v39, vcc
	s_add_u32 s28, s28, 1
	s_addc_u32 s29, s29, 0
	s_waitcnt vmcnt(0)
	v_and_b32_e32 v38, 0xffff, v7
	v_lshlrev_b64 v[12:13], s26, v[38:39]
	s_add_u32 s26, s26, 8
	s_addc_u32 s27, s27, 0
	v_or_b32_e32 v22, v12, v22
	s_cmp_lg_u32 s13, s28
	v_or_b32_e32 v23, v13, v23
	s_cbranch_scc1 .LBB0_379
; %bb.380:                              ;   in Loop: Header=BB0_369 Depth=2
	s_mov_b32 s30, 0
	s_cbranch_execnz .LBB0_382
.LBB0_381:                              ;   in Loop: Header=BB0_369 Depth=2
	global_load_dwordx2 v[22:23], v39, s[6:7]
	s_add_i32 s30, s13, -8
	s_add_u32 s6, s6, 8
	s_addc_u32 s7, s7, 0
.LBB0_382:                              ;   in Loop: Header=BB0_369 Depth=2
	s_cmp_gt_u32 s30, 7
	s_cbranch_scc1 .LBB0_439
; %bb.383:                              ;   in Loop: Header=BB0_369 Depth=2
	s_cmp_eq_u32 s30, 0
	s_cbranch_scc1 .LBB0_445
; %bb.384:                              ;   in Loop: Header=BB0_369 Depth=2
	s_mov_b64 s[26:27], 0
	v_pk_mov_b32 v[24:25], 0, 0
	s_mov_b64 s[28:29], 0
.LBB0_385:                              ;   Parent Loop BB0_42 Depth=1
                                        ;     Parent Loop BB0_369 Depth=2
                                        ; =>    This Inner Loop Header: Depth=3
	s_add_u32 vcc_lo, s6, s28
	s_addc_u32 vcc_hi, s7, s29
	global_load_ubyte v7, v39, vcc
	s_add_u32 s28, s28, 1
	s_addc_u32 s29, s29, 0
	s_waitcnt vmcnt(0)
	v_and_b32_e32 v38, 0xffff, v7
	v_lshlrev_b64 v[12:13], s26, v[38:39]
	s_add_u32 s26, s26, 8
	s_addc_u32 s27, s27, 0
	v_or_b32_e32 v24, v12, v24
	s_cmp_lg_u32 s30, s28
	v_or_b32_e32 v25, v13, v25
	s_cbranch_scc1 .LBB0_385
; %bb.386:                              ;   in Loop: Header=BB0_369 Depth=2
	s_mov_b32 s13, 0
	s_cbranch_execnz .LBB0_388
.LBB0_387:                              ;   in Loop: Header=BB0_369 Depth=2
	global_load_dwordx2 v[24:25], v39, s[6:7]
	s_add_i32 s13, s30, -8
	s_add_u32 s6, s6, 8
	s_addc_u32 s7, s7, 0
.LBB0_388:                              ;   in Loop: Header=BB0_369 Depth=2
	s_cmp_gt_u32 s13, 7
	s_cbranch_scc1 .LBB0_440
; %bb.389:                              ;   in Loop: Header=BB0_369 Depth=2
	s_cmp_eq_u32 s13, 0
	s_cbranch_scc1 .LBB0_446
; %bb.390:                              ;   in Loop: Header=BB0_369 Depth=2
	s_mov_b64 s[26:27], 0
	v_pk_mov_b32 v[26:27], 0, 0
	s_mov_b64 s[28:29], 0
.LBB0_391:                              ;   Parent Loop BB0_42 Depth=1
                                        ;     Parent Loop BB0_369 Depth=2
                                        ; =>    This Inner Loop Header: Depth=3
	s_add_u32 vcc_lo, s6, s28
	s_addc_u32 vcc_hi, s7, s29
	global_load_ubyte v7, v39, vcc
	s_add_u32 s28, s28, 1
	s_addc_u32 s29, s29, 0
	s_waitcnt vmcnt(0)
	v_and_b32_e32 v38, 0xffff, v7
	v_lshlrev_b64 v[12:13], s26, v[38:39]
	s_add_u32 s26, s26, 8
	s_addc_u32 s27, s27, 0
	v_or_b32_e32 v26, v12, v26
	s_cmp_lg_u32 s13, s28
	v_or_b32_e32 v27, v13, v27
	s_cbranch_scc1 .LBB0_391
; %bb.392:                              ;   in Loop: Header=BB0_369 Depth=2
	s_mov_b32 s30, 0
	s_cbranch_execnz .LBB0_394
.LBB0_393:                              ;   in Loop: Header=BB0_369 Depth=2
	global_load_dwordx2 v[26:27], v39, s[6:7]
	s_add_i32 s30, s13, -8
	s_add_u32 s6, s6, 8
	s_addc_u32 s7, s7, 0
.LBB0_394:                              ;   in Loop: Header=BB0_369 Depth=2
	s_cmp_gt_u32 s30, 7
	s_cbranch_scc1 .LBB0_441
; %bb.395:                              ;   in Loop: Header=BB0_369 Depth=2
	s_cmp_eq_u32 s30, 0
	s_cbranch_scc1 .LBB0_447
; %bb.396:                              ;   in Loop: Header=BB0_369 Depth=2
	s_mov_b64 s[26:27], 0
	v_pk_mov_b32 v[28:29], 0, 0
	s_mov_b64 s[28:29], 0
.LBB0_397:                              ;   Parent Loop BB0_42 Depth=1
                                        ;     Parent Loop BB0_369 Depth=2
                                        ; =>    This Inner Loop Header: Depth=3
	s_add_u32 vcc_lo, s6, s28
	s_addc_u32 vcc_hi, s7, s29
	global_load_ubyte v7, v39, vcc
	s_add_u32 s28, s28, 1
	s_addc_u32 s29, s29, 0
	s_waitcnt vmcnt(0)
	v_and_b32_e32 v38, 0xffff, v7
	v_lshlrev_b64 v[12:13], s26, v[38:39]
	s_add_u32 s26, s26, 8
	s_addc_u32 s27, s27, 0
	v_or_b32_e32 v28, v12, v28
	s_cmp_lg_u32 s30, s28
	v_or_b32_e32 v29, v13, v29
	s_cbranch_scc1 .LBB0_397
; %bb.398:                              ;   in Loop: Header=BB0_369 Depth=2
	s_mov_b32 s13, 0
	s_cbranch_execnz .LBB0_400
.LBB0_399:                              ;   in Loop: Header=BB0_369 Depth=2
	global_load_dwordx2 v[28:29], v39, s[6:7]
	s_add_i32 s13, s30, -8
	s_add_u32 s6, s6, 8
	s_addc_u32 s7, s7, 0
.LBB0_400:                              ;   in Loop: Header=BB0_369 Depth=2
	s_cmp_gt_u32 s13, 7
	s_cbranch_scc1 .LBB0_442
; %bb.401:                              ;   in Loop: Header=BB0_369 Depth=2
	s_cmp_eq_u32 s13, 0
	s_cbranch_scc1 .LBB0_448
; %bb.402:                              ;   in Loop: Header=BB0_369 Depth=2
	s_mov_b64 s[26:27], 0
	v_pk_mov_b32 v[30:31], 0, 0
	s_mov_b64 s[28:29], 0
.LBB0_403:                              ;   Parent Loop BB0_42 Depth=1
                                        ;     Parent Loop BB0_369 Depth=2
                                        ; =>    This Inner Loop Header: Depth=3
	s_add_u32 vcc_lo, s6, s28
	s_addc_u32 vcc_hi, s7, s29
	global_load_ubyte v7, v39, vcc
	s_add_u32 s28, s28, 1
	s_addc_u32 s29, s29, 0
	s_waitcnt vmcnt(0)
	v_and_b32_e32 v38, 0xffff, v7
	v_lshlrev_b64 v[12:13], s26, v[38:39]
	s_add_u32 s26, s26, 8
	s_addc_u32 s27, s27, 0
	v_or_b32_e32 v30, v12, v30
	s_cmp_lg_u32 s13, s28
	v_or_b32_e32 v31, v13, v31
	s_cbranch_scc1 .LBB0_403
; %bb.404:                              ;   in Loop: Header=BB0_369 Depth=2
	s_mov_b32 s30, 0
	s_cbranch_execnz .LBB0_406
.LBB0_405:                              ;   in Loop: Header=BB0_369 Depth=2
	global_load_dwordx2 v[30:31], v39, s[6:7]
	s_add_i32 s30, s13, -8
	s_add_u32 s6, s6, 8
	s_addc_u32 s7, s7, 0
.LBB0_406:                              ;   in Loop: Header=BB0_369 Depth=2
	s_cmp_gt_u32 s30, 7
	s_cbranch_scc1 .LBB0_443
; %bb.407:                              ;   in Loop: Header=BB0_369 Depth=2
	s_cmp_eq_u32 s30, 0
	s_cbranch_scc1 .LBB0_449
; %bb.408:                              ;   in Loop: Header=BB0_369 Depth=2
	s_mov_b64 s[26:27], 0
	v_pk_mov_b32 v[32:33], 0, 0
	s_mov_b64 s[28:29], s[6:7]
.LBB0_409:                              ;   Parent Loop BB0_42 Depth=1
                                        ;     Parent Loop BB0_369 Depth=2
                                        ; =>    This Inner Loop Header: Depth=3
	global_load_ubyte v7, v39, s[28:29]
	s_add_i32 s30, s30, -1
	s_waitcnt vmcnt(0)
	v_and_b32_e32 v38, 0xffff, v7
	v_lshlrev_b64 v[12:13], s26, v[38:39]
	s_add_u32 s26, s26, 8
	s_addc_u32 s27, s27, 0
	s_add_u32 s28, s28, 1
	s_addc_u32 s29, s29, 0
	v_or_b32_e32 v32, v12, v32
	s_cmp_lg_u32 s30, 0
	v_or_b32_e32 v33, v13, v33
	s_cbranch_scc1 .LBB0_409
; %bb.410:                              ;   in Loop: Header=BB0_369 Depth=2
	s_cbranch_execnz .LBB0_412
.LBB0_411:                              ;   in Loop: Header=BB0_369 Depth=2
	global_load_dwordx2 v[32:33], v39, s[6:7]
.LBB0_412:                              ;   in Loop: Header=BB0_369 Depth=2
	v_readfirstlane_b32 s6, v51
	v_cmp_eq_u32_e64 s[6:7], s6, v51
	v_pk_mov_b32 v[12:13], 0, 0
	s_and_saveexec_b64 s[26:27], s[6:7]
	s_cbranch_execz .LBB0_418
; %bb.413:                              ;   in Loop: Header=BB0_369 Depth=2
	global_load_dwordx2 v[36:37], v39, s[20:21] offset:24 glc
	s_waitcnt vmcnt(0)
	buffer_invl2
	buffer_wbinvl1_vol
	global_load_dwordx2 v[12:13], v39, s[20:21] offset:40
	global_load_dwordx2 v[34:35], v39, s[20:21]
	s_waitcnt vmcnt(1)
	v_and_b32_e32 v7, v12, v36
	v_and_b32_e32 v9, v13, v37
	v_mul_lo_u32 v9, v9, 24
	v_mul_hi_u32 v10, v7, 24
	v_mul_lo_u32 v7, v7, 24
	v_add_u32_e32 v9, v10, v9
	s_waitcnt vmcnt(0)
	v_add_co_u32_e32 v12, vcc, v34, v7
	v_addc_co_u32_e32 v13, vcc, v35, v9, vcc
	global_load_dwordx2 v[34:35], v[12:13], off glc
	s_waitcnt vmcnt(0)
	global_atomic_cmpswap_x2 v[12:13], v39, v[34:37], s[20:21] offset:24 glc
	s_waitcnt vmcnt(0)
	buffer_invl2
	buffer_wbinvl1_vol
	v_cmp_ne_u64_e32 vcc, v[12:13], v[36:37]
	s_and_saveexec_b64 s[28:29], vcc
	s_cbranch_execz .LBB0_417
; %bb.414:                              ;   in Loop: Header=BB0_369 Depth=2
	s_mov_b64 s[30:31], 0
.LBB0_415:                              ;   Parent Loop BB0_42 Depth=1
                                        ;     Parent Loop BB0_369 Depth=2
                                        ; =>    This Inner Loop Header: Depth=3
	s_sleep 1
	global_load_dwordx2 v[34:35], v39, s[20:21] offset:40
	global_load_dwordx2 v[48:49], v39, s[20:21]
	v_pk_mov_b32 v[36:37], v[12:13], v[12:13] op_sel:[0,1]
	s_waitcnt vmcnt(1)
	v_and_b32_e32 v9, v34, v36
	s_waitcnt vmcnt(0)
	v_mad_u64_u32 v[12:13], vcc, v9, 24, v[48:49]
	v_and_b32_e32 v7, v35, v37
	v_mov_b32_e32 v10, v13
	v_mad_u64_u32 v[34:35], vcc, v7, 24, v[10:11]
	v_mov_b32_e32 v13, v34
	global_load_dwordx2 v[34:35], v[12:13], off glc
	s_waitcnt vmcnt(0)
	global_atomic_cmpswap_x2 v[12:13], v39, v[34:37], s[20:21] offset:24 glc
	s_waitcnt vmcnt(0)
	buffer_invl2
	buffer_wbinvl1_vol
	v_cmp_eq_u64_e32 vcc, v[12:13], v[36:37]
	s_or_b64 s[30:31], vcc, s[30:31]
	s_andn2_b64 exec, exec, s[30:31]
	s_cbranch_execnz .LBB0_415
; %bb.416:                              ;   in Loop: Header=BB0_369 Depth=2
	s_or_b64 exec, exec, s[30:31]
.LBB0_417:                              ;   in Loop: Header=BB0_369 Depth=2
	s_or_b64 exec, exec, s[28:29]
.LBB0_418:                              ;   in Loop: Header=BB0_369 Depth=2
	s_or_b64 exec, exec, s[26:27]
	global_load_dwordx2 v[48:49], v39, s[20:21] offset:40
	global_load_dwordx4 v[34:37], v39, s[20:21]
	v_readfirstlane_b32 s26, v12
	v_readfirstlane_b32 s27, v13
	s_mov_b64 s[28:29], exec
	s_waitcnt vmcnt(1)
	v_readfirstlane_b32 vcc_lo, v48
	v_readfirstlane_b32 vcc_hi, v49
	s_and_b64 s[30:31], s[26:27], vcc
	s_mul_i32 s13, s31, 24
	s_mul_hi_u32 vcc_lo, s30, 24
	s_mul_i32 vcc_hi, s30, 24
	s_add_i32 s13, vcc_lo, s13
	v_mov_b32_e32 v7, s13
	s_waitcnt vmcnt(0)
	v_add_co_u32_e32 v48, vcc, vcc_hi, v34
	v_addc_co_u32_e32 v49, vcc, v35, v7, vcc
	s_and_saveexec_b64 vcc, s[6:7]
	s_cbranch_execz .LBB0_420
; %bb.419:                              ;   in Loop: Header=BB0_369 Depth=2
	v_pk_mov_b32 v[12:13], s[28:29], s[28:29] op_sel:[0,1]
	global_store_dwordx4 v[48:49], v[12:15], off offset:8
.LBB0_420:                              ;   in Loop: Header=BB0_369 Depth=2
	s_or_b64 exec, exec, vcc
	s_lshl_b64 s[28:29], s[30:31], 12
	v_mov_b32_e32 v7, s29
	v_add_co_u32_e32 v12, vcc, s28, v36
	v_addc_co_u32_e32 v7, vcc, v37, v7, vcc
	v_or_b32_e32 v9, 2, v18
	v_cmp_gt_u64_e64 vcc, s[22:23], 56
	s_lshl_b32 s13, s24, 2
	v_cndmask_b32_e32 v9, v9, v18, vcc
	s_add_i32 s13, s13, 28
	s_and_b32 s13, s13, 0x1e0
	v_and_b32_e32 v9, 0xffffff1f, v9
	v_or_b32_e32 v18, s13, v9
	v_readfirstlane_b32 s28, v12
	v_readfirstlane_b32 s29, v7
	s_nop 4
	global_store_dwordx4 v54, v[18:21], s[28:29]
	global_store_dwordx4 v54, v[22:25], s[28:29] offset:16
	global_store_dwordx4 v54, v[26:29], s[28:29] offset:32
	;; [unrolled: 1-line block ×3, first 2 shown]
	s_and_saveexec_b64 s[28:29], s[6:7]
	s_cbranch_execz .LBB0_428
; %bb.421:                              ;   in Loop: Header=BB0_369 Depth=2
	global_load_dwordx2 v[26:27], v39, s[20:21] offset:32 glc
	global_load_dwordx2 v[18:19], v39, s[20:21] offset:40
	v_mov_b32_e32 v24, s26
	v_mov_b32_e32 v25, s27
	s_waitcnt vmcnt(0)
	v_readfirstlane_b32 vcc_lo, v18
	v_readfirstlane_b32 vcc_hi, v19
	s_and_b64 vcc, vcc, s[26:27]
	s_mul_i32 s13, vcc_hi, 24
	s_mul_hi_u32 vcc_hi, vcc_lo, 24
	s_mul_i32 vcc_lo, vcc_lo, 24
	s_add_i32 s13, vcc_hi, s13
	v_mov_b32_e32 v9, s13
	v_add_co_u32_e32 v22, vcc, vcc_lo, v34
	v_addc_co_u32_e32 v23, vcc, v35, v9, vcc
	global_store_dwordx2 v[22:23], v[26:27], off
	buffer_wbl2
	s_waitcnt vmcnt(0)
	global_atomic_cmpswap_x2 v[20:21], v39, v[24:27], s[20:21] offset:32 glc
	s_waitcnt vmcnt(0)
	v_cmp_ne_u64_e32 vcc, v[20:21], v[26:27]
	s_and_saveexec_b64 s[30:31], vcc
	s_cbranch_execz .LBB0_424
; %bb.422:                              ;   in Loop: Header=BB0_369 Depth=2
	s_mov_b64 s[34:35], 0
.LBB0_423:                              ;   Parent Loop BB0_42 Depth=1
                                        ;     Parent Loop BB0_369 Depth=2
                                        ; =>    This Inner Loop Header: Depth=3
	s_sleep 1
	global_store_dwordx2 v[22:23], v[20:21], off
	v_mov_b32_e32 v18, s26
	v_mov_b32_e32 v19, s27
	buffer_wbl2
	s_waitcnt vmcnt(0)
	global_atomic_cmpswap_x2 v[18:19], v39, v[18:21], s[20:21] offset:32 glc
	s_waitcnt vmcnt(0)
	v_cmp_eq_u64_e32 vcc, v[18:19], v[20:21]
	s_or_b64 s[34:35], vcc, s[34:35]
	v_pk_mov_b32 v[20:21], v[18:19], v[18:19] op_sel:[0,1]
	s_andn2_b64 exec, exec, s[34:35]
	s_cbranch_execnz .LBB0_423
.LBB0_424:                              ;   in Loop: Header=BB0_369 Depth=2
	s_or_b64 exec, exec, s[30:31]
	global_load_dwordx2 v[18:19], v39, s[20:21] offset:16
	s_mov_b64 s[34:35], exec
	v_mbcnt_lo_u32_b32 v9, s34, 0
	v_mbcnt_hi_u32_b32 v9, s35, v9
	v_cmp_eq_u32_e32 vcc, 0, v9
	s_and_saveexec_b64 s[30:31], vcc
	s_cbranch_execz .LBB0_426
; %bb.425:                              ;   in Loop: Header=BB0_369 Depth=2
	s_bcnt1_i32_b64 s13, s[34:35]
	v_mov_b32_e32 v10, s13
	buffer_wbl2
	s_waitcnt vmcnt(0)
	global_atomic_add_x2 v[18:19], v[10:11], off offset:8
.LBB0_426:                              ;   in Loop: Header=BB0_369 Depth=2
	s_or_b64 exec, exec, s[30:31]
	s_waitcnt vmcnt(0)
	global_load_dwordx2 v[20:21], v[18:19], off offset:16
	s_waitcnt vmcnt(0)
	v_cmp_eq_u64_e32 vcc, 0, v[20:21]
	s_cbranch_vccnz .LBB0_428
; %bb.427:                              ;   in Loop: Header=BB0_369 Depth=2
	global_load_dword v38, v[18:19], off offset:24
	s_waitcnt vmcnt(0)
	v_and_b32_e32 v9, 0xffffff, v38
	v_readfirstlane_b32 m0, v9
	buffer_wbl2
	global_store_dwordx2 v[20:21], v[38:39], off
	s_sendmsg sendmsg(MSG_INTERRUPT)
.LBB0_428:                              ;   in Loop: Header=BB0_369 Depth=2
	s_or_b64 exec, exec, s[28:29]
	v_add_co_u32_e32 v12, vcc, v12, v54
	v_addc_co_u32_e32 v13, vcc, 0, v7, vcc
	s_branch .LBB0_430
.LBB0_429:                              ;   in Loop: Header=BB0_369 Depth=2
	s_branch .LBB0_434
.LBB0_430:                              ;   Parent Loop BB0_42 Depth=1
                                        ;     Parent Loop BB0_369 Depth=2
                                        ; =>    This Inner Loop Header: Depth=3
	v_mov_b32_e32 v7, 1
	s_and_saveexec_b64 s[28:29], s[6:7]
	s_cbranch_execz .LBB0_432
; %bb.431:                              ;   in Loop: Header=BB0_430 Depth=3
	global_load_dword v7, v[48:49], off offset:20 glc
	s_waitcnt vmcnt(0)
	buffer_invl2
	buffer_wbinvl1_vol
	v_and_b32_e32 v7, 1, v7
.LBB0_432:                              ;   in Loop: Header=BB0_430 Depth=3
	s_or_b64 exec, exec, s[28:29]
	v_readfirstlane_b32 s13, v7
	s_cmp_eq_u32 s13, 0
	s_cbranch_scc1 .LBB0_429
; %bb.433:                              ;   in Loop: Header=BB0_430 Depth=3
	s_sleep 1
	s_cbranch_execnz .LBB0_430
.LBB0_434:                              ;   in Loop: Header=BB0_369 Depth=2
	global_load_dwordx4 v[18:21], v[12:13], off
	s_and_saveexec_b64 s[28:29], s[6:7]
	s_cbranch_execz .LBB0_368
; %bb.435:                              ;   in Loop: Header=BB0_369 Depth=2
	global_load_dwordx2 v[12:13], v39, s[20:21] offset:40
	global_load_dwordx2 v[24:25], v39, s[20:21] offset:24 glc
	global_load_dwordx2 v[26:27], v39, s[20:21]
	v_mov_b32_e32 v7, s27
	s_waitcnt vmcnt(2)
	v_add_co_u32_e32 v9, vcc, 1, v12
	v_addc_co_u32_e32 v10, vcc, 0, v13, vcc
	v_add_co_u32_e32 v20, vcc, s26, v9
	v_addc_co_u32_e32 v21, vcc, v10, v7, vcc
	v_cmp_eq_u64_e32 vcc, 0, v[20:21]
	v_cndmask_b32_e32 v21, v21, v10, vcc
	v_cndmask_b32_e32 v20, v20, v9, vcc
	v_and_b32_e32 v7, v21, v13
	v_and_b32_e32 v9, v20, v12
	v_mul_lo_u32 v7, v7, 24
	v_mul_hi_u32 v10, v9, 24
	v_mul_lo_u32 v9, v9, 24
	v_add_u32_e32 v7, v10, v7
	s_waitcnt vmcnt(0)
	v_add_co_u32_e32 v12, vcc, v26, v9
	v_addc_co_u32_e32 v13, vcc, v27, v7, vcc
	v_mov_b32_e32 v22, v24
	global_store_dwordx2 v[12:13], v[24:25], off
	v_mov_b32_e32 v23, v25
	buffer_wbl2
	s_waitcnt vmcnt(0)
	global_atomic_cmpswap_x2 v[22:23], v39, v[20:23], s[20:21] offset:24 glc
	s_waitcnt vmcnt(0)
	v_cmp_ne_u64_e32 vcc, v[22:23], v[24:25]
	s_and_b64 exec, exec, vcc
	s_cbranch_execz .LBB0_368
; %bb.436:                              ;   in Loop: Header=BB0_369 Depth=2
	s_mov_b64 s[6:7], 0
.LBB0_437:                              ;   Parent Loop BB0_42 Depth=1
                                        ;     Parent Loop BB0_369 Depth=2
                                        ; =>    This Inner Loop Header: Depth=3
	s_sleep 1
	global_store_dwordx2 v[12:13], v[22:23], off
	buffer_wbl2
	s_waitcnt vmcnt(0)
	global_atomic_cmpswap_x2 v[24:25], v39, v[20:23], s[20:21] offset:24 glc
	s_waitcnt vmcnt(0)
	v_cmp_eq_u64_e32 vcc, v[24:25], v[22:23]
	s_or_b64 s[6:7], vcc, s[6:7]
	v_pk_mov_b32 v[22:23], v[24:25], v[24:25] op_sel:[0,1]
	s_andn2_b64 exec, exec, s[6:7]
	s_cbranch_execnz .LBB0_437
	s_branch .LBB0_368
.LBB0_438:                              ;   in Loop: Header=BB0_369 Depth=2
                                        ; implicit-def: $vgpr22_vgpr23
                                        ; implicit-def: $sgpr30
	s_branch .LBB0_381
.LBB0_439:                              ;   in Loop: Header=BB0_369 Depth=2
                                        ; implicit-def: $sgpr13
	s_branch .LBB0_387
.LBB0_440:                              ;   in Loop: Header=BB0_369 Depth=2
                                        ; implicit-def: $vgpr26_vgpr27
                                        ; implicit-def: $sgpr30
	s_branch .LBB0_393
.LBB0_441:                              ;   in Loop: Header=BB0_369 Depth=2
                                        ; implicit-def: $sgpr13
	s_branch .LBB0_399
.LBB0_442:                              ;   in Loop: Header=BB0_369 Depth=2
                                        ; implicit-def: $vgpr30_vgpr31
                                        ; implicit-def: $sgpr30
	s_branch .LBB0_405
.LBB0_443:                              ;   in Loop: Header=BB0_369 Depth=2
	s_branch .LBB0_411
.LBB0_444:                              ;   in Loop: Header=BB0_369 Depth=2
	v_pk_mov_b32 v[22:23], 0, 0
	s_mov_b32 s30, 0
	s_cbranch_execnz .LBB0_382
	s_branch .LBB0_381
.LBB0_445:                              ;   in Loop: Header=BB0_369 Depth=2
	v_pk_mov_b32 v[24:25], 0, 0
	s_mov_b32 s13, 0
	s_cbranch_execnz .LBB0_388
	s_branch .LBB0_387
.LBB0_446:                              ;   in Loop: Header=BB0_369 Depth=2
	v_pk_mov_b32 v[26:27], 0, 0
	s_mov_b32 s30, 0
	s_cbranch_execnz .LBB0_394
	s_branch .LBB0_393
.LBB0_447:                              ;   in Loop: Header=BB0_369 Depth=2
	v_pk_mov_b32 v[28:29], 0, 0
	s_mov_b32 s13, 0
	s_cbranch_execnz .LBB0_400
	s_branch .LBB0_399
.LBB0_448:                              ;   in Loop: Header=BB0_369 Depth=2
	v_pk_mov_b32 v[30:31], 0, 0
	s_mov_b32 s30, 0
	s_cbranch_execnz .LBB0_406
	s_branch .LBB0_405
.LBB0_449:                              ;   in Loop: Header=BB0_369 Depth=2
	v_pk_mov_b32 v[32:33], 0, 0
	s_cbranch_execnz .LBB0_412
	s_branch .LBB0_411
.LBB0_450:                              ;   in Loop: Header=BB0_42 Depth=1
	s_mov_b32 s13, 1
	s_branch .LBB0_480
.LBB0_451:                              ;   in Loop: Header=BB0_42 Depth=1
                                        ; implicit-def: $sgpr13
	s_cbranch_execz .LBB0_480
; %bb.452:                              ;   in Loop: Header=BB0_42 Depth=1
	v_readfirstlane_b32 s6, v51
	v_cmp_eq_u32_e64 s[6:7], s6, v51
	v_pk_mov_b32 v[12:13], 0, 0
	s_and_saveexec_b64 s[14:15], s[6:7]
	s_cbranch_execz .LBB0_458
; %bb.453:                              ;   in Loop: Header=BB0_42 Depth=1
	global_load_dwordx2 v[20:21], v39, s[20:21] offset:24 glc
	s_waitcnt vmcnt(0)
	buffer_invl2
	buffer_wbinvl1_vol
	global_load_dwordx2 v[12:13], v39, s[20:21] offset:40
	global_load_dwordx2 v[18:19], v39, s[20:21]
	s_waitcnt vmcnt(1)
	v_and_b32_e32 v7, v12, v20
	v_and_b32_e32 v9, v13, v21
	v_mul_lo_u32 v9, v9, 24
	v_mul_hi_u32 v10, v7, 24
	v_mul_lo_u32 v7, v7, 24
	v_add_u32_e32 v9, v10, v9
	s_waitcnt vmcnt(0)
	v_add_co_u32_e32 v12, vcc, v18, v7
	v_addc_co_u32_e32 v13, vcc, v19, v9, vcc
	global_load_dwordx2 v[18:19], v[12:13], off glc
	s_waitcnt vmcnt(0)
	global_atomic_cmpswap_x2 v[12:13], v39, v[18:21], s[20:21] offset:24 glc
	s_waitcnt vmcnt(0)
	buffer_invl2
	buffer_wbinvl1_vol
	v_cmp_ne_u64_e32 vcc, v[12:13], v[20:21]
	s_and_saveexec_b64 s[22:23], vcc
	s_cbranch_execz .LBB0_457
; %bb.454:                              ;   in Loop: Header=BB0_42 Depth=1
	s_mov_b64 s[24:25], 0
.LBB0_455:                              ;   Parent Loop BB0_42 Depth=1
                                        ; =>  This Inner Loop Header: Depth=2
	s_sleep 1
	global_load_dwordx2 v[18:19], v39, s[20:21] offset:40
	global_load_dwordx2 v[22:23], v39, s[20:21]
	v_pk_mov_b32 v[20:21], v[12:13], v[12:13] op_sel:[0,1]
	s_waitcnt vmcnt(1)
	v_and_b32_e32 v9, v18, v20
	s_waitcnt vmcnt(0)
	v_mad_u64_u32 v[12:13], s[26:27], v9, 24, v[22:23]
	v_and_b32_e32 v7, v19, v21
	v_mov_b32_e32 v10, v13
	v_mad_u64_u32 v[18:19], s[26:27], v7, 24, v[10:11]
	v_mov_b32_e32 v13, v18
	global_load_dwordx2 v[18:19], v[12:13], off glc
	s_waitcnt vmcnt(0)
	global_atomic_cmpswap_x2 v[12:13], v39, v[18:21], s[20:21] offset:24 glc
	s_waitcnt vmcnt(0)
	buffer_invl2
	buffer_wbinvl1_vol
	v_cmp_eq_u64_e32 vcc, v[12:13], v[20:21]
	s_or_b64 s[24:25], vcc, s[24:25]
	s_andn2_b64 exec, exec, s[24:25]
	s_cbranch_execnz .LBB0_455
; %bb.456:                              ;   in Loop: Header=BB0_42 Depth=1
	s_or_b64 exec, exec, s[24:25]
.LBB0_457:                              ;   in Loop: Header=BB0_42 Depth=1
	s_or_b64 exec, exec, s[22:23]
.LBB0_458:                              ;   in Loop: Header=BB0_42 Depth=1
	s_or_b64 exec, exec, s[14:15]
	global_load_dwordx2 v[18:19], v39, s[20:21] offset:40
	global_load_dwordx4 v[20:23], v39, s[20:21]
	v_readfirstlane_b32 s22, v12
	v_readfirstlane_b32 s23, v13
	s_mov_b64 s[14:15], exec
	s_waitcnt vmcnt(1)
	v_readfirstlane_b32 s24, v18
	v_readfirstlane_b32 s25, v19
	s_and_b64 s[24:25], s[22:23], s[24:25]
	s_mul_i32 s13, s25, 24
	s_mul_hi_u32 s26, s24, 24
	s_mul_i32 s27, s24, 24
	s_add_i32 s13, s26, s13
	v_mov_b32_e32 v7, s13
	s_waitcnt vmcnt(0)
	v_add_co_u32_e32 v24, vcc, s27, v20
	v_addc_co_u32_e32 v25, vcc, v21, v7, vcc
	s_and_saveexec_b64 s[26:27], s[6:7]
	s_cbranch_execz .LBB0_460
; %bb.459:                              ;   in Loop: Header=BB0_42 Depth=1
	v_pk_mov_b32 v[12:13], s[14:15], s[14:15] op_sel:[0,1]
	global_store_dwordx4 v[24:25], v[12:15], off offset:8
.LBB0_460:                              ;   in Loop: Header=BB0_42 Depth=1
	s_or_b64 exec, exec, s[26:27]
	s_lshl_b64 s[14:15], s[24:25], 12
	v_mov_b32_e32 v7, s15
	v_add_co_u32_e32 v10, vcc, s14, v22
	v_addc_co_u32_e32 v7, vcc, v23, v7, vcc
	v_and_or_b32 v16, v16, s36, 34
	v_mov_b32_e32 v18, v11
	v_mov_b32_e32 v19, v11
	v_readfirstlane_b32 s24, v10
	v_readfirstlane_b32 s25, v7
	s_mov_b32 s14, s12
	s_mov_b32 s15, s12
	;; [unrolled: 1-line block ×3, first 2 shown]
	s_nop 1
	global_store_dwordx4 v54, v[16:19], s[24:25]
	s_nop 0
	v_pk_mov_b32 v[18:19], s[14:15], s[14:15] op_sel:[0,1]
	v_pk_mov_b32 v[16:17], s[12:13], s[12:13] op_sel:[0,1]
	global_store_dwordx4 v54, v[16:19], s[24:25] offset:16
	global_store_dwordx4 v54, v[16:19], s[24:25] offset:32
	;; [unrolled: 1-line block ×3, first 2 shown]
	s_and_saveexec_b64 s[14:15], s[6:7]
	s_cbranch_execz .LBB0_468
; %bb.461:                              ;   in Loop: Header=BB0_42 Depth=1
	global_load_dwordx2 v[28:29], v39, s[20:21] offset:32 glc
	global_load_dwordx2 v[12:13], v39, s[20:21] offset:40
	v_mov_b32_e32 v26, s22
	v_mov_b32_e32 v27, s23
	s_waitcnt vmcnt(0)
	v_readfirstlane_b32 s24, v12
	v_readfirstlane_b32 s25, v13
	s_and_b64 s[24:25], s[24:25], s[22:23]
	s_mul_i32 s13, s25, 24
	s_mul_hi_u32 s25, s24, 24
	s_mul_i32 s24, s24, 24
	s_add_i32 s13, s25, s13
	v_mov_b32_e32 v7, s13
	v_add_co_u32_e32 v12, vcc, s24, v20
	v_addc_co_u32_e32 v13, vcc, v21, v7, vcc
	global_store_dwordx2 v[12:13], v[28:29], off
	buffer_wbl2
	s_waitcnt vmcnt(0)
	global_atomic_cmpswap_x2 v[18:19], v39, v[26:29], s[20:21] offset:32 glc
	s_waitcnt vmcnt(0)
	v_cmp_ne_u64_e32 vcc, v[18:19], v[28:29]
	s_and_saveexec_b64 s[24:25], vcc
	s_cbranch_execz .LBB0_464
; %bb.462:                              ;   in Loop: Header=BB0_42 Depth=1
	s_mov_b64 s[26:27], 0
.LBB0_463:                              ;   Parent Loop BB0_42 Depth=1
                                        ; =>  This Inner Loop Header: Depth=2
	s_sleep 1
	global_store_dwordx2 v[12:13], v[18:19], off
	v_mov_b32_e32 v16, s22
	v_mov_b32_e32 v17, s23
	buffer_wbl2
	s_waitcnt vmcnt(0)
	global_atomic_cmpswap_x2 v[16:17], v39, v[16:19], s[20:21] offset:32 glc
	s_waitcnt vmcnt(0)
	v_cmp_eq_u64_e32 vcc, v[16:17], v[18:19]
	s_or_b64 s[26:27], vcc, s[26:27]
	v_pk_mov_b32 v[18:19], v[16:17], v[16:17] op_sel:[0,1]
	s_andn2_b64 exec, exec, s[26:27]
	s_cbranch_execnz .LBB0_463
.LBB0_464:                              ;   in Loop: Header=BB0_42 Depth=1
	s_or_b64 exec, exec, s[24:25]
	global_load_dwordx2 v[12:13], v39, s[20:21] offset:16
	s_mov_b64 s[26:27], exec
	v_mbcnt_lo_u32_b32 v7, s26, 0
	v_mbcnt_hi_u32_b32 v7, s27, v7
	v_cmp_eq_u32_e32 vcc, 0, v7
	s_and_saveexec_b64 s[24:25], vcc
	s_cbranch_execz .LBB0_466
; %bb.465:                              ;   in Loop: Header=BB0_42 Depth=1
	s_bcnt1_i32_b64 s13, s[26:27]
	v_mov_b32_e32 v10, s13
	buffer_wbl2
	s_waitcnt vmcnt(0)
	global_atomic_add_x2 v[12:13], v[10:11], off offset:8
.LBB0_466:                              ;   in Loop: Header=BB0_42 Depth=1
	s_or_b64 exec, exec, s[24:25]
	s_waitcnt vmcnt(0)
	global_load_dwordx2 v[16:17], v[12:13], off offset:16
	s_waitcnt vmcnt(0)
	v_cmp_eq_u64_e32 vcc, 0, v[16:17]
	s_cbranch_vccnz .LBB0_468
; %bb.467:                              ;   in Loop: Header=BB0_42 Depth=1
	global_load_dword v38, v[12:13], off offset:24
	s_waitcnt vmcnt(0)
	v_and_b32_e32 v7, 0xffffff, v38
	v_readfirstlane_b32 m0, v7
	buffer_wbl2
	global_store_dwordx2 v[16:17], v[38:39], off
	s_sendmsg sendmsg(MSG_INTERRUPT)
.LBB0_468:                              ;   in Loop: Header=BB0_42 Depth=1
	s_or_b64 exec, exec, s[14:15]
	s_branch .LBB0_470
.LBB0_469:                              ;   in Loop: Header=BB0_42 Depth=1
	s_branch .LBB0_474
.LBB0_470:                              ;   Parent Loop BB0_42 Depth=1
                                        ; =>  This Inner Loop Header: Depth=2
	v_mov_b32_e32 v7, 1
	s_and_saveexec_b64 s[14:15], s[6:7]
	s_cbranch_execz .LBB0_472
; %bb.471:                              ;   in Loop: Header=BB0_470 Depth=2
	global_load_dword v7, v[24:25], off offset:20 glc
	s_waitcnt vmcnt(0)
	buffer_invl2
	buffer_wbinvl1_vol
	v_and_b32_e32 v7, 1, v7
.LBB0_472:                              ;   in Loop: Header=BB0_470 Depth=2
	s_or_b64 exec, exec, s[14:15]
	v_readfirstlane_b32 s13, v7
	s_cmp_eq_u32 s13, 0
	s_cbranch_scc1 .LBB0_469
; %bb.473:                              ;   in Loop: Header=BB0_470 Depth=2
	s_sleep 1
	s_cbranch_execnz .LBB0_470
.LBB0_474:                              ;   in Loop: Header=BB0_42 Depth=1
	s_and_saveexec_b64 s[14:15], s[6:7]
	s_xor_b64 s[6:7], exec, s[14:15]
	s_cbranch_execz .LBB0_479
; %bb.475:                              ;   in Loop: Header=BB0_42 Depth=1
	global_load_dwordx2 v[12:13], v39, s[20:21] offset:40
	global_load_dwordx2 v[20:21], v39, s[20:21] offset:24 glc
	global_load_dwordx2 v[22:23], v39, s[20:21]
	v_mov_b32_e32 v7, s23
	s_waitcnt vmcnt(2)
	v_add_co_u32_e32 v9, vcc, 1, v12
	v_addc_co_u32_e32 v10, vcc, 0, v13, vcc
	v_add_co_u32_e32 v16, vcc, s22, v9
	v_addc_co_u32_e32 v17, vcc, v10, v7, vcc
	v_cmp_eq_u64_e32 vcc, 0, v[16:17]
	v_cndmask_b32_e32 v17, v17, v10, vcc
	v_cndmask_b32_e32 v16, v16, v9, vcc
	v_and_b32_e32 v7, v17, v13
	v_and_b32_e32 v9, v16, v12
	v_mul_lo_u32 v7, v7, 24
	v_mul_hi_u32 v10, v9, 24
	v_mul_lo_u32 v9, v9, 24
	v_add_u32_e32 v7, v10, v7
	s_waitcnt vmcnt(0)
	v_add_co_u32_e32 v12, vcc, v22, v9
	v_addc_co_u32_e32 v13, vcc, v23, v7, vcc
	v_mov_b32_e32 v18, v20
	global_store_dwordx2 v[12:13], v[20:21], off
	v_mov_b32_e32 v19, v21
	buffer_wbl2
	s_waitcnt vmcnt(0)
	global_atomic_cmpswap_x2 v[18:19], v39, v[16:19], s[20:21] offset:24 glc
	s_waitcnt vmcnt(0)
	v_cmp_ne_u64_e32 vcc, v[18:19], v[20:21]
	s_and_saveexec_b64 s[14:15], vcc
	s_cbranch_execz .LBB0_478
; %bb.476:                              ;   in Loop: Header=BB0_42 Depth=1
	s_mov_b64 s[22:23], 0
.LBB0_477:                              ;   Parent Loop BB0_42 Depth=1
                                        ; =>  This Inner Loop Header: Depth=2
	s_sleep 1
	global_store_dwordx2 v[12:13], v[18:19], off
	buffer_wbl2
	s_waitcnt vmcnt(0)
	global_atomic_cmpswap_x2 v[20:21], v39, v[16:19], s[20:21] offset:24 glc
	s_waitcnt vmcnt(0)
	v_cmp_eq_u64_e32 vcc, v[20:21], v[18:19]
	s_or_b64 s[22:23], vcc, s[22:23]
	v_pk_mov_b32 v[18:19], v[20:21], v[20:21] op_sel:[0,1]
	s_andn2_b64 exec, exec, s[22:23]
	s_cbranch_execnz .LBB0_477
.LBB0_478:                              ;   in Loop: Header=BB0_42 Depth=1
	s_or_b64 exec, exec, s[14:15]
.LBB0_479:                              ;   in Loop: Header=BB0_42 Depth=1
	s_or_b64 exec, exec, s[6:7]
	s_mov_b32 s13, 1
.LBB0_480:                              ;   in Loop: Header=BB0_42 Depth=1
	v_mov_b32_e32 v9, s13
	v_mov_b32_e32 v7, v50
.LBB0_481:                              ;   in Loop: Header=BB0_42 Depth=1
	s_or_b64 exec, exec, s[18:19]
.LBB0_482:                              ;   in Loop: Header=BB0_42 Depth=1
	s_or_b64 exec, exec, s[16:17]
	s_branch .LBB0_42
.LBB0_483:
	v_readlane_b32 s30, v40, 3
	v_mad_u64_u32 v[0:1], s[4:5], v52, 56, v[0:1]
	v_readlane_b32 s31, v40, 4
	v_readlane_b32 s36, v40, 2
	;; [unrolled: 1-line block ×4, first 2 shown]
	s_or_saveexec_b64 s[4:5], -1
	buffer_load_dword v40, off, s[0:3], s32 ; 4-byte Folded Reload
	s_mov_b64 exec, s[4:5]
	s_waitcnt vmcnt(0) lgkmcnt(0)
	s_setpc_b64 s[30:31]
.LBB0_484:
	s_andn2_saveexec_b64 s[10:11], s[10:11]
	s_cbranch_execz .LBB0_9
.LBB0_485:
	v_cmp_eq_u32_e32 vcc, 1, v7
	s_andn2_b64 s[6:7], s[6:7], exec
	s_and_b64 s[12:13], vcc, exec
	s_or_b64 s[6:7], s[6:7], s[12:13]
	s_or_b64 exec, exec, s[10:11]
	s_and_saveexec_b64 s[10:11], s[6:7]
	s_cbranch_execnz .LBB0_10
	s_branch .LBB0_11
.LBB0_486:
	s_or_saveexec_b64 s[12:13], s[12:13]
                                        ; implicit-def: $sgpr14
	s_xor_b64 exec, exec, s[12:13]
	s_cbranch_execz .LBB0_24
.LBB0_487:
	v_cmp_eq_u32_e32 vcc, 2, v11
	s_andn2_b64 s[10:11], s[10:11], exec
	s_and_b64 s[16:17], vcc, exec
	s_mov_b32 s14, 0
	v_mov_b32_e32 v14, 0
	s_or_b64 s[10:11], s[10:11], s[16:17]
	s_or_b64 exec, exec, s[12:13]
	v_mov_b32_e32 v15, s14
	s_and_saveexec_b64 s[12:13], s[10:11]
	s_cbranch_execnz .LBB0_25
	s_branch .LBB0_26
.LBB0_488:
	s_andn2_saveexec_b64 s[12:13], s[12:13]
	s_cbranch_execz .LBB0_30
.LBB0_489:
	v_cmp_eq_u32_e32 vcc, 1, v10
	s_andn2_b64 s[10:11], s[10:11], exec
	s_and_b64 s[14:15], vcc, exec
	s_or_b64 s[10:11], s[10:11], s[14:15]
	s_or_b64 exec, exec, s[12:13]
	s_and_saveexec_b64 s[12:13], s[10:11]
	s_cbranch_execnz .LBB0_31
	s_branch .LBB0_32
.LBB0_490:
	s_andn2_saveexec_b64 s[12:13], s[12:13]
	s_cbranch_execz .LBB0_36
.LBB0_491:
	v_cmp_eq_u32_e32 vcc, 1, v13
	s_andn2_b64 s[10:11], s[10:11], exec
	s_and_b64 s[14:15], vcc, exec
	v_mov_b32_e32 v11, 0
	s_or_b64 s[10:11], s[10:11], s[14:15]
	s_or_b64 exec, exec, s[12:13]
	s_and_saveexec_b64 s[12:13], s[10:11]
	s_cbranch_execnz .LBB0_37
	s_branch .LBB0_38
.Lfunc_end0:
	.size	_Z13ht_get_atomicP6loc_ht9cstr_typej, .Lfunc_end0-_Z13ht_get_atomicP6loc_ht9cstr_typej
                                        ; -- End function
	.section	.AMDGPU.csdata,"",@progbits
; Function info:
; codeLenInByte = 16228
; NumSgprs: 41
; NumVgprs: 55
; NumAgprs: 0
; TotalNumVgprs: 55
; ScratchSize: 8
; MemoryBound: 0
	.section	.text._Z22iterative_walks_kernelILi32EEvPjS0_PcS1_S1_S0_S0_PdP6loc_htS0_P11loc_ht_boolijS0_llliijS1_S1_S0_i,"axG",@progbits,_Z22iterative_walks_kernelILi32EEvPjS0_PcS1_S1_S0_S0_PdP6loc_htS0_P11loc_ht_boolijS0_llliijS1_S1_S0_i,comdat
	.protected	_Z22iterative_walks_kernelILi32EEvPjS0_PcS1_S1_S0_S0_PdP6loc_htS0_P11loc_ht_boolijS0_llliijS1_S1_S0_i ; -- Begin function _Z22iterative_walks_kernelILi32EEvPjS0_PcS1_S1_S0_S0_PdP6loc_htS0_P11loc_ht_boolijS0_llliijS1_S1_S0_i
	.globl	_Z22iterative_walks_kernelILi32EEvPjS0_PcS1_S1_S0_S0_PdP6loc_htS0_P11loc_ht_boolijS0_llliijS1_S1_S0_i
	.p2align	8
	.type	_Z22iterative_walks_kernelILi32EEvPjS0_PcS1_S1_S0_S0_PdP6loc_htS0_P11loc_ht_boolijS0_llliijS1_S1_S0_i,@function
_Z22iterative_walks_kernelILi32EEvPjS0_PcS1_S1_S0_S0_PdP6loc_htS0_P11loc_ht_boolijS0_llliijS1_S1_S0_i: ; @_Z22iterative_walks_kernelILi32EEvPjS0_PcS1_S1_S0_S0_PdP6loc_htS0_P11loc_ht_boolijS0_llliijS1_S1_S0_i
; %bb.0:
	s_add_u32 flat_scratch_lo, s8, s11
	s_addc_u32 flat_scratch_hi, s9, 0
	s_mov_b64 s[38:39], s[6:7]
	s_load_dword s6, s[6:7], 0xbc
	s_nop 0
	s_load_dword s7, s[38:39], 0xa8
	s_add_u32 s0, s0, s11
	s_addc_u32 s1, s1, 0
	s_add_u32 s64, s38, 0xb0
	s_addc_u32 s65, s39, 0
	s_waitcnt lgkmcnt(0)
	s_and_b32 s6, s6, 0xffff
	v_and_b32_e32 v1, 0x3ff, v0
	s_mul_i32 s10, s10, s6
	v_add_u32_e32 v2, s10, v1
	v_lshrrev_b32_e32 v8, 5, v2
	v_cmp_gt_i32_e32 vcc, s7, v8
	s_movk_i32 s32, 0x1400
	s_and_saveexec_b64 s[6:7], vcc
	s_cbranch_execz .LBB1_729
; %bb.1:
	s_load_dwordx16 s[48:63], s[38:39], 0x8
	s_load_dwordx4 s[8:11], s[38:39], 0x48
	s_load_dwordx2 s[16:17], s[38:39], 0x58
	s_load_dwordx2 s[66:67], s[38:39], 0x70
	s_load_dwordx4 s[12:15], s[38:39], 0x90
	v_cmp_lt_u32_e64 s[40:41], 31, v2
	v_lshlrev_b32_e32 v55, 2, v8
                                        ; implicit-def: $vgpr60_vgpr61
                                        ; implicit-def: $vgpr62_vgpr63
                                        ; implicit-def: $vgpr70_vgpr71
                                        ; implicit-def: $vgpr68_vgpr69
                                        ; implicit-def: $vgpr66_vgpr67
                                        ; implicit-def: $vgpr41
                                        ; implicit-def: $vgpr42_vgpr43
                                        ; implicit-def: $vgpr85
                                        ; implicit-def: $vgpr64_vgpr65
                                        ; implicit-def: $vgpr88
                                        ; implicit-def: $vgpr2_vgpr3
	s_and_saveexec_b64 s[6:7], s[40:41]
	s_xor_b64 s[18:19], exec, s[6:7]
	s_cbranch_execz .LBB1_7
; %bb.2:
	s_waitcnt lgkmcnt(0)
	global_load_dwordx2 v[4:5], v55, s[48:49] offset:-4
	global_load_dwordx2 v[6:7], v55, s[58:59] offset:-4
	v_lshlrev_b32_e32 v2, 3, v8
	global_load_dwordx2 v[2:3], v2, s[60:61]
	v_pk_mov_b32 v[60:61], s[52:53], s[52:53] op_sel:[0,1]
	s_waitcnt vmcnt(1)
	v_cmp_ne_u32_e32 vcc, 0, v6
	s_and_saveexec_b64 s[20:21], vcc
	s_cbranch_execz .LBB1_4
; %bb.3:
	v_add_u32_e32 v10, -1, v6
	v_mov_b32_e32 v11, 0
	v_lshlrev_b64 v[10:11], 2, v[10:11]
	v_mov_b32_e32 v9, s57
	v_add_co_u32_e64 v10, s[6:7], s56, v10
	v_addc_co_u32_e64 v11, s[6:7], v9, v11, s[6:7]
	global_load_dword v9, v[10:11], off
	v_mov_b32_e32 v10, s53
	s_waitcnt vmcnt(0)
	v_add_co_u32_e64 v60, s[6:7], s52, v9
	v_addc_co_u32_e64 v61, s[6:7], 0, v10, s[6:7]
.LBB1_4:
	s_or_b64 exec, exec, s[20:21]
	v_pk_mov_b32 v[62:63], s[54:55], s[54:55] op_sel:[0,1]
	s_and_saveexec_b64 s[6:7], vcc
	s_cbranch_execz .LBB1_6
; %bb.5:
	v_add_u32_e32 v10, -1, v6
	v_mov_b32_e32 v11, 0
	v_lshlrev_b64 v[10:11], 2, v[10:11]
	v_mov_b32_e32 v9, s57
	v_add_co_u32_e32 v10, vcc, s56, v10
	v_addc_co_u32_e32 v11, vcc, v9, v11, vcc
	global_load_dword v9, v[10:11], off
	v_mov_b32_e32 v10, s55
	s_waitcnt vmcnt(0)
	v_add_co_u32_e32 v62, vcc, s54, v9
	v_addc_co_u32_e32 v63, vcc, 0, v10, vcc
.LBB1_6:
	s_or_b64 exec, exec, s[6:7]
	global_load_dwordx2 v[10:11], v55, s[8:9] offset:-4
	v_mad_u64_u32 v[12:13], s[6:7], v8, s66, 0
	v_pk_mov_b32 v[14:15], s[12:13], s[12:13] op_sel:[0,1]
	v_mad_u64_u32 v[66:67], s[6:7], v12, 24, s[10:11]
	v_mad_u64_u32 v[68:69], s[6:7], v8, s66, v[14:15]
	v_sub_u32_e32 v85, v5, v4
	v_mul_lo_u32 v5, v8, s67
	v_pk_mov_b32 v[16:17], s[14:15], s[14:15] op_sel:[0,1]
	s_add_u32 s6, s17, s66
	v_sub_u32_e32 v88, v7, v6
	v_add_co_u32_e32 v64, vcc, s50, v4
	v_add_u32_e32 v6, v13, v5
	v_mov_b32_e32 v4, v67
	v_mad_u64_u32 v[70:71], s[6:7], s6, v8, v[16:17]
	v_add_u32_e32 v69, v5, v69
	s_addc_u32 s17, 0, s67
	v_mad_u64_u32 v[4:5], s[6:7], v6, 24, v[4:5]
	v_mov_b32_e32 v6, v71
	v_mov_b32_e32 v9, s51
	;; [unrolled: 1-line block ×3, first 2 shown]
	v_mad_u64_u32 v[4:5], s[6:7], s17, v8, v[6:7]
	v_addc_co_u32_e32 v65, vcc, 0, v9, vcc
	v_mov_b32_e32 v71, v4
	s_waitcnt vmcnt(0)
	v_mad_u64_u32 v[42:43], s[6:7], v10, 56, s[62:63]
	v_sub_u32_e32 v41, v11, v10
.LBB1_7:
	s_or_saveexec_b64 s[6:7], s[18:19]
	s_load_dwordx2 s[68:69], s[38:39], 0xa0
	s_xor_b64 exec, exec, s[6:7]
	s_cbranch_execz .LBB1_9
; %bb.8:
	s_waitcnt lgkmcnt(0)
	s_load_dwordx2 s[18:19], s[60:61], 0x0
	s_load_dword s17, s[58:59], 0x0
	s_load_dword s20, s[48:49], 0x0
	;; [unrolled: 1-line block ×3, first 2 shown]
	v_pk_mov_b32 v[64:65], s[50:51], s[50:51] op_sel:[0,1]
	s_waitcnt lgkmcnt(0)
	v_pk_mov_b32 v[2:3], s[18:19], s[18:19] op_sel:[0,1]
	v_mov_b32_e32 v88, s17
	v_mov_b32_e32 v85, s20
	v_pk_mov_b32 v[42:43], s[62:63], s[62:63] op_sel:[0,1]
	v_mov_b32_e32 v41, s21
	v_pk_mov_b32 v[66:67], s[10:11], s[10:11] op_sel:[0,1]
	v_pk_mov_b32 v[68:69], s[12:13], s[12:13] op_sel:[0,1]
	;; [unrolled: 1-line block ×5, first 2 shown]
.LBB1_9:
	s_or_b64 exec, exec, s[6:7]
	v_min_i32_e32 v89, 0x79, v85
	s_waitcnt lgkmcnt(0)
	s_cmp_gt_i32 s16, 20
	s_cselect_b64 s[6:7], -1, 0
	v_cmp_le_i32_e32 vcc, s16, v89
	v_and_b32_e32 v72, 31, v1
	s_and_b64 s[6:7], s[6:7], vcc
	v_mov_b32_e32 v103, 0
	s_and_saveexec_b64 s[54:55], s[6:7]
	s_cbranch_execz .LBB1_727
; %bb.10:
	s_load_dwordx2 s[6:7], s[4:5], 0x4
	s_load_dword s33, s[38:39], 0x88
	v_bfe_u32 v4, v0, 10, 10
	v_bfe_u32 v0, v0, 20, 10
	v_add_co_u32_e32 v74, vcc, s58, v55
	s_waitcnt lgkmcnt(0)
	s_lshr_b32 s4, s6, 16
	s_mul_i32 s4, s4, s7
	v_mul_lo_u32 v1, s4, v1
	v_mad_u32_u24 v1, v4, s7, v1
	v_add_lshl_u32 v90, v1, v0, 4
	v_mov_b32_e32 v0, s59
	s_getpc_b64 s[4:5]
	s_add_u32 s4, s4, .str.3@rel32@lo+4
	s_addc_u32 s5, s5, .str.3@rel32@hi+12
	v_addc_co_u32_e32 v75, vcc, 0, v0, vcc
	s_cmp_lg_u64 s[4:5], 0
	v_cvt_i32_f64_e32 v0, v[2:3]
	v_mov_b32_e32 v1, 0
	s_mov_b32 s4, 0x9999999a
	v_add_u32_e32 v91, 16, v1
	v_add_u32_e32 v92, 32, v1
	;; [unrolled: 1-line block ×3, first 2 shown]
	v_cvt_f64_i32_e32 v[0:1], v0
	s_mov_b32 s5, 0x3fc99999
	v_mul_f64 v[2:3], v[0:1], s[4:5]
	v_max_f64 v[76:77], v[2:3], 2.0
	s_mov_b32 s4, 0x33333333
	v_cvt_f32_u32_e32 v2, s66
	s_mov_b32 s5, 0x3fd33333
	s_cselect_b64 s[72:73], -1, 0
	v_mul_f64 v[0:1], v[0:1], s[4:5]
	s_getpc_b64 s[4:5]
	s_add_u32 s4, s4, .str.4@rel32@lo+4
	s_addc_u32 s5, s5, .str.4@rel32@hi+12
	v_max_f64 v[78:79], v[0:1], 2.0
	s_cmp_lg_u64 s[4:5], 0
	v_xad_u32 v0, v72, -1, v41
	s_movk_i32 s4, 0x5f
	v_lshrrev_b32_e32 v1, 5, v0
	v_cmp_lt_u32_e64 s[50:51], s4, v0
	v_rcp_iflag_f32_e32 v0, v2
	v_cvt_f32_u32_e32 v2, v41
	s_cselect_b64 s[74:75], -1, 0
	s_cmp_gt_i32 s66, 0
	v_mul_f32_e32 v0, 0x4f7ffffe, v0
	v_rcp_iflag_f32_e32 v2, v2
	v_cvt_u32_f32_e32 v0, v0
	v_add_u32_e32 v1, 1, v1
	s_cselect_b64 s[76:77], -1, 0
	v_mul_f32_e32 v2, 0x4f7ffffe, v2
	v_and_b32_e32 v94, 0xffffffc, v1
	s_sub_i32 s4, 0, s66
	v_cvt_u32_f32_e32 v2, v2
	v_cmp_ne_u32_e64 s[52:53], v1, v94
	v_mul_lo_u32 v1, s4, v0
	v_mul_hi_u32 v1, v0, v1
	v_add_u32_e32 v95, v0, v1
	v_sub_u32_e32 v0, 0, v41
	v_mul_lo_u32 v0, v0, v2
	v_mov_b32_e32 v47, 0
	v_mul_hi_u32 v0, v2, v0
	v_mov_b32_e32 v73, v47
	v_add_u32_e32 v84, v2, v0
	v_add_co_u32_e32 v86, vcc, 8, v42
	v_mov_b32_e32 v59, 1
	v_mbcnt_lo_u32_b32 v0, -1, 0
	v_cmp_lt_u32_e64 s[42:43], v72, v41
	s_mov_b32 s60, 0
	v_cmp_ne_u32_e64 s[44:45], 0, v88
	s_mov_b64 s[70:71], 0
	v_cmp_gt_i64_e64 s[46:47], s[66:67], v[72:73]
	v_cmp_eq_u32_e64 s[48:49], 0, v72
	v_lshl_or_b32 v80, v94, 5, v72
	v_or_b32_e32 v83, 32, v72
	v_mov_b32_e32 v82, v72
	v_addc_co_u32_e32 v87, vcc, 0, v43, vcc
	v_mov_b32_e32 v4, s16
	v_mov_b32_e32 v96, -1
	s_movk_i32 s37, 0xff1d
	s_movk_i32 s88, 0x4e
	;; [unrolled: 1-line block ×9, first 2 shown]
	v_mov_b32_e32 v97, 1
	s_mov_b32 s96, 0x5bd1e995
	s_movk_i32 s97, 0x57
	s_movk_i32 s98, 0x58
	v_mbcnt_hi_u32_b32 v98, -1, v0
	v_mov_b32_e32 v58, 2
	v_mov_b32_e32 v44, 33
	;; [unrolled: 1-line block ×9, first 2 shown]
	s_branch .LBB1_13
.LBB1_11:                               ;   in Loop: Header=BB1_13 Depth=1
	s_or_b64 exec, exec, s[6:7]
	s_orn2_b64 s[6:7], s[4:5], exec
.LBB1_12:                               ;   in Loop: Header=BB1_13 Depth=1
	s_or_b64 exec, exec, s[8:9]
	s_and_b64 s[4:5], exec, s[6:7]
	s_or_b64 s[70:71], s[4:5], s[70:71]
	s_andn2_b64 exec, exec, s[70:71]
	s_cbranch_execz .LBB1_726
.LBB1_13:                               ; =>This Loop Header: Depth=1
                                        ;     Child Loop BB1_16 Depth 2
                                        ;     Child Loop BB1_22 Depth 2
	;; [unrolled: 1-line block ×3, first 2 shown]
                                        ;       Child Loop BB1_41 Depth 3
                                        ;         Child Loop BB1_45 Depth 4
                                        ;         Child Loop BB1_53 Depth 4
	;; [unrolled: 1-line block ×9, first 2 shown]
                                        ;           Child Loop BB1_74 Depth 5
                                        ;           Child Loop BB1_81 Depth 5
	;; [unrolled: 1-line block ×11, first 2 shown]
                                        ;     Child Loop BB1_227 Depth 2
                                        ;       Child Loop BB1_336 Depth 3
                                        ;       Child Loop BB1_344 Depth 3
	;; [unrolled: 1-line block ×9, first 2 shown]
                                        ;         Child Loop BB1_437 Depth 4
                                        ;         Child Loop BB1_444 Depth 4
	;; [unrolled: 1-line block ×11, first 2 shown]
                                        ;     Child Loop BB1_579 Depth 2
                                        ;     Child Loop BB1_582 Depth 2
	;; [unrolled: 1-line block ×3, first 2 shown]
                                        ;       Child Loop BB1_594 Depth 3
                                        ;       Child Loop BB1_613 Depth 3
	;; [unrolled: 1-line block ×3, first 2 shown]
                                        ;         Child Loop BB1_624 Depth 4
                                        ;       Child Loop BB1_638 Depth 3
                                        ;       Child Loop BB1_657 Depth 3
	;; [unrolled: 1-line block ×3, first 2 shown]
                                        ;         Child Loop BB1_668 Depth 4
                                        ;     Child Loop BB1_712 Depth 2
	s_and_saveexec_b64 s[6:7], s[42:43]
	s_cbranch_execz .LBB1_23
; %bb.14:                               ;   in Loop: Header=BB1_13 Depth=1
	s_mov_b64 s[8:9], -1
	v_mov_b32_e32 v5, v72
	v_pk_mov_b32 v[0:1], v[72:73], v[72:73] op_sel:[0,1]
	s_and_saveexec_b64 s[4:5], s[50:51]
	s_cbranch_execz .LBB1_20
; %bb.15:                               ;   in Loop: Header=BB1_13 Depth=1
	s_mov_b64 s[8:9], 0
	v_mov_b32_e32 v2, v94
	v_pk_mov_b32 v[0:1], v[82:83], v[82:83] op_sel:[0,1]
.LBB1_16:                               ;   Parent Loop BB1_13 Depth=1
                                        ; =>  This Inner Loop Header: Depth=2
	v_add_u32_e32 v2, -4, v2
	v_add_u32_e32 v3, 64, v1
	v_add_u32_e32 v5, 64, v0
	v_cmp_eq_u32_e32 vcc, 0, v2
	v_mad_u64_u32 v[6:7], s[10:11], v0, 56, v[42:43]
	v_mad_u64_u32 v[8:9], s[10:11], v1, 56, v[42:43]
	v_add_u32_e32 v1, 0x80, v1
	v_add_u32_e32 v0, 0x80, v0
	v_mad_u64_u32 v[10:11], s[10:11], v5, 56, v[42:43]
	v_mad_u64_u32 v[12:13], s[10:11], v3, 56, v[42:43]
	s_or_b64 s[8:9], vcc, s[8:9]
	global_store_dword v[6:7], v96, off offset:8
	global_store_dword v[8:9], v96, off offset:8
	;; [unrolled: 1-line block ×4, first 2 shown]
	s_andn2_b64 exec, exec, s[8:9]
	s_cbranch_execnz .LBB1_16
; %bb.17:                               ;   in Loop: Header=BB1_13 Depth=1
	s_or_b64 exec, exec, s[8:9]
	s_mov_b64 s[8:9], 0
                                        ; implicit-def: $vgpr0_vgpr1
	s_and_saveexec_b64 s[10:11], s[52:53]
	s_xor_b64 s[10:11], exec, s[10:11]
; %bb.18:                               ;   in Loop: Header=BB1_13 Depth=1
	v_mov_b32_e32 v81, v47
	s_mov_b64 s[8:9], exec
	v_pk_mov_b32 v[0:1], v[80:81], v[80:81] op_sel:[0,1]
; %bb.19:                               ;   in Loop: Header=BB1_13 Depth=1
	s_or_b64 exec, exec, s[10:11]
	s_orn2_b64 s[8:9], s[8:9], exec
	v_mov_b32_e32 v5, v80
.LBB1_20:                               ;   in Loop: Header=BB1_13 Depth=1
	s_or_b64 exec, exec, s[4:5]
	s_and_b64 exec, exec, s[8:9]
	s_cbranch_execz .LBB1_23
; %bb.21:                               ;   in Loop: Header=BB1_13 Depth=1
	v_mad_u64_u32 v[2:3], s[4:5], v0, 56, v[86:87]
	v_mov_b32_e32 v0, v3
	v_mad_u64_u32 v[0:1], s[4:5], v1, 56, v[0:1]
	v_mov_b32_e32 v3, v0
	s_mov_b64 s[8:9], 0
.LBB1_22:                               ;   Parent Loop BB1_13 Depth=1
                                        ; =>  This Inner Loop Header: Depth=2
	v_add_u32_e32 v5, 32, v5
	global_store_dword v[2:3], v96, off
	v_add_co_u32_e32 v2, vcc, 0x700, v2
	v_cmp_ge_u32_e64 s[4:5], v5, v41
	s_or_b64 s[8:9], s[4:5], s[8:9]
	v_addc_co_u32_e32 v3, vcc, 0, v3, vcc
	s_andn2_b64 exec, exec, s[8:9]
	s_cbranch_execnz .LBB1_22
.LBB1_23:                               ;   in Loop: Header=BB1_13 Depth=1
	s_or_b64 exec, exec, s[6:7]
	s_and_saveexec_b64 s[78:79], s[44:45]
	s_cbranch_execz .LBB1_223
; %bb.24:                               ;   in Loop: Header=BB1_13 Depth=1
	s_mov_b32 s99, 0
	s_mov_b64 s[80:81], 0
	v_mov_b32_e32 v81, 0
	s_branch .LBB1_27
.LBB1_25:                               ;   in Loop: Header=BB1_27 Depth=2
	s_or_b64 exec, exec, s[84:85]
	v_add_u32_e32 v81, v106, v81
.LBB1_26:                               ;   in Loop: Header=BB1_27 Depth=2
	s_or_b64 exec, exec, s[82:83]
	s_add_i32 s99, s99, 1
	v_cmp_eq_u32_e32 vcc, s99, v88
	s_or_b64 s[80:81], vcc, s[80:81]
	s_andn2_b64 exec, exec, s[80:81]
	s_cbranch_execz .LBB1_223
.LBB1_27:                               ;   Parent Loop BB1_13 Depth=1
                                        ; =>  This Loop Header: Depth=2
                                        ;       Child Loop BB1_41 Depth 3
                                        ;         Child Loop BB1_45 Depth 4
                                        ;         Child Loop BB1_53 Depth 4
                                        ;         Child Loop BB1_62 Depth 4
                                        ;         Child Loop BB1_67 Depth 4
                                        ;         Child Loop BB1_157 Depth 4
                                        ;         Child Loop BB1_165 Depth 4
                                        ;         Child Loop BB1_174 Depth 4
                                        ;         Child Loop BB1_179 Depth 4
                                        ;         Child Loop BB1_71 Depth 4
                                        ;           Child Loop BB1_74 Depth 5
                                        ;           Child Loop BB1_81 Depth 5
	;; [unrolled: 1-line block ×11, first 2 shown]
	s_cmp_lg_u32 s99, 0
	s_cbranch_scc0 .LBB1_30
; %bb.28:                               ;   in Loop: Header=BB1_27 Depth=2
	global_load_dword v0, v[74:75], off
	v_mov_b32_e32 v2, s57
	v_mov_b32_e32 v5, s57
	s_waitcnt vmcnt(0)
	v_sub_u32_e32 v0, v0, v88
	v_add_u32_e32 v46, s99, v0
	v_lshlrev_b64 v[0:1], 2, v[46:47]
	v_add_u32_e32 v46, -1, v46
	v_add_co_u32_e32 v0, vcc, s56, v0
	v_addc_co_u32_e32 v1, vcc, v2, v1, vcc
	v_lshlrev_b64 v[2:3], 2, v[46:47]
	v_add_co_u32_e32 v2, vcc, s56, v2
	v_addc_co_u32_e32 v3, vcc, v5, v3, vcc
	global_load_dword v0, v[0:1], off
	s_nop 0
	global_load_dword v1, v[2:3], off
	s_waitcnt vmcnt(0)
	v_sub_u32_e32 v106, v0, v1
	s_cbranch_execz .LBB1_31
; %bb.29:                               ;   in Loop: Header=BB1_27 Depth=2
	v_cmp_ge_i32_e32 vcc, v106, v4
	s_and_saveexec_b64 s[82:83], vcc
	s_cbranch_execz .LBB1_26
	s_branch .LBB1_38
.LBB1_30:                               ;   in Loop: Header=BB1_27 Depth=2
                                        ; implicit-def: $vgpr106
.LBB1_31:                               ;   in Loop: Header=BB1_27 Depth=2
                                        ; implicit-def: $vgpr106
	s_and_saveexec_b64 s[4:5], s[40:41]
	s_xor_b64 s[4:5], exec, s[4:5]
	s_cbranch_execz .LBB1_35
; %bb.32:                               ;   in Loop: Header=BB1_27 Depth=2
	global_load_dwordx2 v[0:1], v[74:75], off offset:-4
	v_mov_b32_e32 v5, s57
	s_waitcnt vmcnt(0)
	v_sub_u32_e32 v46, v1, v88
	v_lshlrev_b64 v[2:3], 2, v[46:47]
	v_add_co_u32_e32 v2, vcc, s56, v2
	v_addc_co_u32_e32 v3, vcc, v5, v3, vcc
	global_load_dword v106, v[2:3], off
	v_cmp_ne_u32_e32 vcc, 0, v0
	s_and_saveexec_b64 s[6:7], vcc
	s_cbranch_execz .LBB1_34
; %bb.33:                               ;   in Loop: Header=BB1_27 Depth=2
	v_add_u32_e32 v46, -1, v0
	v_lshlrev_b64 v[0:1], 2, v[46:47]
	v_mov_b32_e32 v2, s57
	v_add_co_u32_e32 v0, vcc, s56, v0
	v_addc_co_u32_e32 v1, vcc, v2, v1, vcc
	global_load_dword v0, v[0:1], off
	s_waitcnt vmcnt(0)
	v_sub_u32_e32 v106, v106, v0
.LBB1_34:                               ;   in Loop: Header=BB1_27 Depth=2
	s_or_b64 exec, exec, s[6:7]
.LBB1_35:                               ;   in Loop: Header=BB1_27 Depth=2
	s_andn2_saveexec_b64 s[4:5], s[4:5]
	s_cbranch_execz .LBB1_37
; %bb.36:                               ;   in Loop: Header=BB1_27 Depth=2
	global_load_dword v0, v47, s[58:59]
	v_mov_b32_e32 v2, s57
	s_waitcnt vmcnt(0)
	v_sub_u32_e32 v46, v0, v88
	v_lshlrev_b64 v[0:1], 2, v[46:47]
	v_add_co_u32_e32 v0, vcc, s56, v0
	v_addc_co_u32_e32 v1, vcc, v2, v1, vcc
	global_load_dword v106, v[0:1], off
.LBB1_37:                               ;   in Loop: Header=BB1_27 Depth=2
	s_or_b64 exec, exec, s[4:5]
	s_waitcnt vmcnt(0)
	v_cmp_ge_i32_e32 vcc, v106, v4
	s_and_saveexec_b64 s[82:83], vcc
	s_cbranch_execz .LBB1_26
.LBB1_38:                               ;   in Loop: Header=BB1_27 Depth=2
	v_sub_u32_e32 v107, v106, v4
	v_cmp_lt_i32_e32 vcc, v72, v107
	s_and_saveexec_b64 s[84:85], vcc
	s_cbranch_execz .LBB1_25
; %bb.39:                               ;   in Loop: Header=BB1_27 Depth=2
	v_add_co_u32_e32 v108, vcc, v60, v81
	v_addc_co_u32_e32 v109, vcc, 0, v61, vcc
	v_add_co_u32_e32 v110, vcc, v62, v81
	v_addc_co_u32_e32 v111, vcc, 0, v63, vcc
	s_mov_b64 s[86:87], 0
	v_mov_b32_e32 v112, v72
	s_branch .LBB1_41
.LBB1_40:                               ;   in Loop: Header=BB1_41 Depth=3
	s_or_b64 exec, exec, s[4:5]
	v_add_u32_e32 v112, 32, v112
	v_cmp_ge_i32_e32 vcc, v112, v107
	s_or_b64 s[86:87], vcc, s[86:87]
	s_andn2_b64 exec, exec, s[86:87]
	s_cbranch_execz .LBB1_25
.LBB1_41:                               ;   Parent Loop BB1_13 Depth=1
                                        ;     Parent Loop BB1_27 Depth=2
                                        ; =>    This Loop Header: Depth=3
                                        ;         Child Loop BB1_45 Depth 4
                                        ;         Child Loop BB1_53 Depth 4
	;; [unrolled: 1-line block ×9, first 2 shown]
                                        ;           Child Loop BB1_74 Depth 5
                                        ;           Child Loop BB1_81 Depth 5
	;; [unrolled: 1-line block ×11, first 2 shown]
	v_add_co_u32_e32 v2, vcc, v108, v112
	s_add_u32 s8, s38, 0xb0
	v_addc_co_u32_e32 v3, vcc, 0, v109, vcc
	s_addc_u32 s9, s39, 0
	v_mov_b32_e32 v0, v42
	v_mov_b32_e32 v1, v43
	v_mov_b32_e32 v5, v41
	s_getpc_b64 s[4:5]
	s_add_u32 s4, s4, _Z13ht_get_atomicP6loc_ht9cstr_typej@rel32@lo+4
	s_addc_u32 s5, s5, _Z13ht_get_atomicP6loc_ht9cstr_typej@rel32@hi+12
	s_swappc_b64 s[30:31], s[4:5]
	v_add_u32_e32 v2, v112, v4
	v_cmp_ge_i32_e32 vcc, v2, v106
	s_and_saveexec_b64 s[6:7], vcc
	s_cbranch_execz .LBB1_180
; %bb.42:                               ;   in Loop: Header=BB1_41 Depth=3
	s_load_dwordx2 s[8:9], s[64:65], 0x50
	v_readfirstlane_b32 s4, v98
	v_cmp_eq_u32_e64 s[4:5], s4, v98
	v_pk_mov_b32 v[10:11], 0, 0
	s_and_saveexec_b64 s[10:11], s[4:5]
	s_cbranch_execz .LBB1_48
; %bb.43:                               ;   in Loop: Header=BB1_41 Depth=3
	s_waitcnt lgkmcnt(0)
	global_load_dwordx2 v[8:9], v47, s[8:9] offset:24 glc
	s_waitcnt vmcnt(0)
	buffer_invl2
	buffer_wbinvl1_vol
	global_load_dwordx2 v[6:7], v47, s[8:9] offset:40
	global_load_dwordx2 v[10:11], v47, s[8:9]
	s_waitcnt vmcnt(1)
	v_and_b32_e32 v3, v6, v8
	v_and_b32_e32 v5, v7, v9
	v_mul_lo_u32 v5, v5, 24
	v_mul_hi_u32 v6, v3, 24
	v_mul_lo_u32 v3, v3, 24
	v_add_u32_e32 v5, v6, v5
	s_waitcnt vmcnt(0)
	v_add_co_u32_e32 v6, vcc, v10, v3
	v_addc_co_u32_e32 v7, vcc, v11, v5, vcc
	global_load_dwordx2 v[6:7], v[6:7], off glc
	s_waitcnt vmcnt(0)
	global_atomic_cmpswap_x2 v[10:11], v47, v[6:9], s[8:9] offset:24 glc
	s_waitcnt vmcnt(0)
	buffer_invl2
	buffer_wbinvl1_vol
	v_cmp_ne_u64_e32 vcc, v[10:11], v[8:9]
	s_and_saveexec_b64 s[12:13], vcc
	s_cbranch_execz .LBB1_47
; %bb.44:                               ;   in Loop: Header=BB1_41 Depth=3
	s_mov_b64 s[14:15], 0
.LBB1_45:                               ;   Parent Loop BB1_13 Depth=1
                                        ;     Parent Loop BB1_27 Depth=2
                                        ;       Parent Loop BB1_41 Depth=3
                                        ; =>      This Inner Loop Header: Depth=4
	s_sleep 1
	global_load_dwordx2 v[6:7], v47, s[8:9] offset:40
	global_load_dwordx2 v[12:13], v47, s[8:9]
	v_pk_mov_b32 v[8:9], v[10:11], v[10:11] op_sel:[0,1]
	s_waitcnt vmcnt(1)
	v_and_b32_e32 v5, v6, v8
	v_and_b32_e32 v3, v7, v9
	s_waitcnt vmcnt(0)
	v_mad_u64_u32 v[6:7], s[16:17], v5, 24, v[12:13]
	v_mov_b32_e32 v10, v7
	v_mad_u64_u32 v[10:11], s[16:17], v3, 24, v[10:11]
	v_mov_b32_e32 v7, v10
	global_load_dwordx2 v[6:7], v[6:7], off glc
	s_waitcnt vmcnt(0)
	global_atomic_cmpswap_x2 v[10:11], v47, v[6:9], s[8:9] offset:24 glc
	s_waitcnt vmcnt(0)
	buffer_invl2
	buffer_wbinvl1_vol
	v_cmp_eq_u64_e32 vcc, v[10:11], v[8:9]
	s_or_b64 s[14:15], vcc, s[14:15]
	s_andn2_b64 exec, exec, s[14:15]
	s_cbranch_execnz .LBB1_45
; %bb.46:                               ;   in Loop: Header=BB1_41 Depth=3
	s_or_b64 exec, exec, s[14:15]
.LBB1_47:                               ;   in Loop: Header=BB1_41 Depth=3
	s_or_b64 exec, exec, s[12:13]
.LBB1_48:                               ;   in Loop: Header=BB1_41 Depth=3
	s_or_b64 exec, exec, s[10:11]
	s_waitcnt lgkmcnt(0)
	global_load_dwordx2 v[12:13], v47, s[8:9] offset:40
	global_load_dwordx4 v[6:9], v47, s[8:9]
	v_readfirstlane_b32 s10, v10
	v_readfirstlane_b32 s11, v11
	s_mov_b64 s[12:13], exec
	s_waitcnt vmcnt(1)
	v_readfirstlane_b32 s14, v12
	v_readfirstlane_b32 s15, v13
	s_and_b64 s[14:15], s[10:11], s[14:15]
	s_mul_i32 s16, s15, 24
	s_mul_hi_u32 s17, s14, 24
	s_mul_i32 s18, s14, 24
	s_add_i32 s16, s17, s16
	v_mov_b32_e32 v3, s16
	s_waitcnt vmcnt(0)
	v_add_co_u32_e32 v10, vcc, s18, v6
	v_addc_co_u32_e32 v11, vcc, v7, v3, vcc
	s_and_saveexec_b64 s[16:17], s[4:5]
	s_cbranch_execz .LBB1_50
; %bb.49:                               ;   in Loop: Header=BB1_41 Depth=3
	v_pk_mov_b32 v[56:57], s[12:13], s[12:13] op_sel:[0,1]
	global_store_dwordx4 v[10:11], v[56:59], off offset:8
.LBB1_50:                               ;   in Loop: Header=BB1_41 Depth=3
	s_or_b64 exec, exec, s[16:17]
	s_lshl_b64 s[12:13], s[14:15], 12
	v_mov_b32_e32 v3, s13
	v_add_co_u32_e32 v12, vcc, s12, v8
	s_mov_b32 s61, s60
	v_addc_co_u32_e32 v3, vcc, v9, v3, vcc
	s_mov_b32 s62, s60
	s_mov_b32 s63, s60
	v_pk_mov_b32 v[14:15], s[60:61], s[60:61] op_sel:[0,1]
	v_lshlrev_b32_e32 v5, 6, v98
	v_mov_b32_e32 v45, v47
	v_mov_b32_e32 v46, v47
	v_readfirstlane_b32 s12, v12
	v_readfirstlane_b32 s13, v3
	v_pk_mov_b32 v[16:17], s[62:63], s[62:63] op_sel:[0,1]
	s_nop 3
	global_store_dwordx4 v5, v[44:47], s[12:13]
	global_store_dwordx4 v5, v[14:17], s[12:13] offset:16
	global_store_dwordx4 v5, v[14:17], s[12:13] offset:32
	;; [unrolled: 1-line block ×3, first 2 shown]
	s_and_saveexec_b64 s[12:13], s[4:5]
	s_cbranch_execz .LBB1_58
; %bb.51:                               ;   in Loop: Header=BB1_41 Depth=3
	global_load_dwordx2 v[18:19], v47, s[8:9] offset:32 glc
	global_load_dwordx2 v[8:9], v47, s[8:9] offset:40
	v_mov_b32_e32 v16, s10
	v_mov_b32_e32 v17, s11
	s_waitcnt vmcnt(0)
	v_and_b32_e32 v8, s10, v8
	v_and_b32_e32 v9, s11, v9
	v_mul_lo_u32 v9, v9, 24
	v_mul_hi_u32 v13, v8, 24
	v_mul_lo_u32 v8, v8, 24
	v_add_u32_e32 v9, v13, v9
	v_add_co_u32_e32 v14, vcc, v6, v8
	v_addc_co_u32_e32 v15, vcc, v7, v9, vcc
	global_store_dwordx2 v[14:15], v[18:19], off
	buffer_wbl2
	s_waitcnt vmcnt(0)
	global_atomic_cmpswap_x2 v[8:9], v47, v[16:19], s[8:9] offset:32 glc
	s_waitcnt vmcnt(0)
	v_cmp_ne_u64_e32 vcc, v[8:9], v[18:19]
	s_and_saveexec_b64 s[14:15], vcc
	s_cbranch_execz .LBB1_54
; %bb.52:                               ;   in Loop: Header=BB1_41 Depth=3
	s_mov_b64 s[16:17], 0
.LBB1_53:                               ;   Parent Loop BB1_13 Depth=1
                                        ;     Parent Loop BB1_27 Depth=2
                                        ;       Parent Loop BB1_41 Depth=3
                                        ; =>      This Inner Loop Header: Depth=4
	s_sleep 1
	global_store_dwordx2 v[14:15], v[8:9], off
	v_mov_b32_e32 v6, s10
	v_mov_b32_e32 v7, s11
	buffer_wbl2
	s_waitcnt vmcnt(0)
	global_atomic_cmpswap_x2 v[6:7], v47, v[6:9], s[8:9] offset:32 glc
	s_waitcnt vmcnt(0)
	v_cmp_eq_u64_e32 vcc, v[6:7], v[8:9]
	s_or_b64 s[16:17], vcc, s[16:17]
	v_pk_mov_b32 v[8:9], v[6:7], v[6:7] op_sel:[0,1]
	s_andn2_b64 exec, exec, s[16:17]
	s_cbranch_execnz .LBB1_53
.LBB1_54:                               ;   in Loop: Header=BB1_41 Depth=3
	s_or_b64 exec, exec, s[14:15]
	global_load_dwordx2 v[6:7], v47, s[8:9] offset:16
	s_mov_b64 s[16:17], exec
	v_mbcnt_lo_u32_b32 v8, s16, 0
	v_mbcnt_hi_u32_b32 v8, s17, v8
	v_cmp_eq_u32_e32 vcc, 0, v8
	s_and_saveexec_b64 s[14:15], vcc
	s_cbranch_execz .LBB1_56
; %bb.55:                               ;   in Loop: Header=BB1_41 Depth=3
	s_bcnt1_i32_b64 s16, s[16:17]
	v_mov_b32_e32 v46, s16
	buffer_wbl2
	s_waitcnt vmcnt(0)
	global_atomic_add_x2 v[6:7], v[46:47], off offset:8
.LBB1_56:                               ;   in Loop: Header=BB1_41 Depth=3
	s_or_b64 exec, exec, s[14:15]
	s_waitcnt vmcnt(0)
	global_load_dwordx2 v[8:9], v[6:7], off offset:16
	s_waitcnt vmcnt(0)
	v_cmp_eq_u64_e32 vcc, 0, v[8:9]
	s_cbranch_vccnz .LBB1_58
; %bb.57:                               ;   in Loop: Header=BB1_41 Depth=3
	global_load_dword v46, v[6:7], off offset:24
	s_waitcnt vmcnt(0)
	v_and_b32_e32 v6, 0xffffff, v46
	v_readfirstlane_b32 m0, v6
	buffer_wbl2
	global_store_dwordx2 v[8:9], v[46:47], off
	s_sendmsg sendmsg(MSG_INTERRUPT)
.LBB1_58:                               ;   in Loop: Header=BB1_41 Depth=3
	s_or_b64 exec, exec, s[12:13]
	v_add_co_u32_e32 v6, vcc, v12, v5
	v_addc_co_u32_e32 v7, vcc, 0, v3, vcc
	s_branch .LBB1_62
.LBB1_59:                               ;   in Loop: Header=BB1_62 Depth=4
	s_or_b64 exec, exec, s[12:13]
	v_readfirstlane_b32 s12, v3
	s_cmp_eq_u32 s12, 0
	s_cbranch_scc1 .LBB1_61
; %bb.60:                               ;   in Loop: Header=BB1_62 Depth=4
	s_sleep 1
	s_cbranch_execnz .LBB1_62
	s_branch .LBB1_64
.LBB1_61:                               ;   in Loop: Header=BB1_41 Depth=3
	s_branch .LBB1_64
.LBB1_62:                               ;   Parent Loop BB1_13 Depth=1
                                        ;     Parent Loop BB1_27 Depth=2
                                        ;       Parent Loop BB1_41 Depth=3
                                        ; =>      This Inner Loop Header: Depth=4
	v_mov_b32_e32 v3, 1
	s_and_saveexec_b64 s[12:13], s[4:5]
	s_cbranch_execz .LBB1_59
; %bb.63:                               ;   in Loop: Header=BB1_62 Depth=4
	global_load_dword v3, v[10:11], off offset:20 glc
	s_waitcnt vmcnt(0)
	buffer_invl2
	buffer_wbinvl1_vol
	v_and_b32_e32 v3, 1, v3
	s_branch .LBB1_59
.LBB1_64:                               ;   in Loop: Header=BB1_41 Depth=3
	global_load_dwordx2 v[6:7], v[6:7], off
	s_and_saveexec_b64 s[12:13], s[4:5]
	s_cbranch_execz .LBB1_68
; %bb.65:                               ;   in Loop: Header=BB1_41 Depth=3
	global_load_dwordx2 v[12:13], v47, s[8:9] offset:40
	global_load_dwordx2 v[14:15], v47, s[8:9] offset:24 glc
	global_load_dwordx2 v[16:17], v47, s[8:9]
	v_mov_b32_e32 v3, s11
	s_waitcnt vmcnt(2)
	v_add_co_u32_e32 v11, vcc, 1, v12
	v_addc_co_u32_e32 v18, vcc, 0, v13, vcc
	v_add_co_u32_e32 v8, vcc, s10, v11
	v_addc_co_u32_e32 v9, vcc, v18, v3, vcc
	v_cmp_eq_u64_e32 vcc, 0, v[8:9]
	v_cndmask_b32_e32 v9, v9, v18, vcc
	v_cndmask_b32_e32 v8, v8, v11, vcc
	v_and_b32_e32 v3, v9, v13
	v_and_b32_e32 v11, v8, v12
	v_mul_lo_u32 v3, v3, 24
	v_mul_hi_u32 v12, v11, 24
	v_mul_lo_u32 v11, v11, 24
	v_add_u32_e32 v3, v12, v3
	s_waitcnt vmcnt(0)
	v_add_co_u32_e32 v12, vcc, v16, v11
	v_addc_co_u32_e32 v13, vcc, v17, v3, vcc
	v_mov_b32_e32 v10, v14
	global_store_dwordx2 v[12:13], v[14:15], off
	v_mov_b32_e32 v11, v15
	buffer_wbl2
	s_waitcnt vmcnt(0)
	global_atomic_cmpswap_x2 v[10:11], v47, v[8:11], s[8:9] offset:24 glc
	s_waitcnt vmcnt(0)
	v_cmp_ne_u64_e32 vcc, v[10:11], v[14:15]
	s_and_b64 exec, exec, vcc
	s_cbranch_execz .LBB1_68
; %bb.66:                               ;   in Loop: Header=BB1_41 Depth=3
	s_mov_b64 s[4:5], 0
.LBB1_67:                               ;   Parent Loop BB1_13 Depth=1
                                        ;     Parent Loop BB1_27 Depth=2
                                        ;       Parent Loop BB1_41 Depth=3
                                        ; =>      This Inner Loop Header: Depth=4
	s_sleep 1
	global_store_dwordx2 v[12:13], v[10:11], off
	buffer_wbl2
	s_waitcnt vmcnt(0)
	global_atomic_cmpswap_x2 v[14:15], v47, v[8:11], s[8:9] offset:24 glc
	s_waitcnt vmcnt(0)
	v_cmp_eq_u64_e32 vcc, v[14:15], v[10:11]
	s_or_b64 s[4:5], vcc, s[4:5]
	v_pk_mov_b32 v[10:11], v[14:15], v[14:15] op_sel:[0,1]
	s_andn2_b64 exec, exec, s[4:5]
	s_cbranch_execnz .LBB1_67
.LBB1_68:                               ;   in Loop: Header=BB1_41 Depth=3
	s_or_b64 exec, exec, s[12:13]
	s_and_b64 vcc, exec, s[72:73]
	s_cbranch_vccz .LBB1_153
; %bb.69:                               ;   in Loop: Header=BB1_41 Depth=3
	s_waitcnt vmcnt(0)
	v_and_b32_e32 v8, -3, v6
	v_mov_b32_e32 v9, v7
	s_mov_b64 s[12:13], 45
	s_getpc_b64 s[10:11]
	s_add_u32 s10, s10, .str.3@rel32@lo+4
	s_addc_u32 s11, s11, .str.3@rel32@hi+12
	s_branch .LBB1_71
.LBB1_70:                               ;   in Loop: Header=BB1_71 Depth=4
	s_or_b64 exec, exec, s[18:19]
	s_sub_u32 s12, s12, s14
	s_subb_u32 s13, s13, s15
	s_add_u32 s10, s10, s14
	s_addc_u32 s11, s11, s15
	s_cmp_lg_u64 s[12:13], 0
	s_cbranch_scc0 .LBB1_152
.LBB1_71:                               ;   Parent Loop BB1_13 Depth=1
                                        ;     Parent Loop BB1_27 Depth=2
                                        ;       Parent Loop BB1_41 Depth=3
                                        ; =>      This Loop Header: Depth=4
                                        ;           Child Loop BB1_74 Depth 5
                                        ;           Child Loop BB1_81 Depth 5
	;; [unrolled: 1-line block ×11, first 2 shown]
	v_cmp_lt_u64_e64 s[4:5], s[12:13], 56
	s_and_b64 s[4:5], s[4:5], exec
	v_cmp_gt_u64_e64 s[4:5], s[12:13], 7
	s_cselect_b32 s15, s13, 0
	s_cselect_b32 s14, s12, 56
	s_and_b64 vcc, exec, s[4:5]
	s_cbranch_vccnz .LBB1_76
; %bb.72:                               ;   in Loop: Header=BB1_71 Depth=4
	s_mov_b64 s[4:5], 0
	s_cmp_eq_u64 s[12:13], 0
	s_waitcnt vmcnt(0)
	v_pk_mov_b32 v[10:11], 0, 0
	s_cbranch_scc1 .LBB1_75
; %bb.73:                               ;   in Loop: Header=BB1_71 Depth=4
	s_lshl_b64 s[16:17], s[14:15], 3
	s_mov_b64 s[18:19], 0
	v_pk_mov_b32 v[10:11], 0, 0
	s_mov_b64 s[20:21], s[10:11]
.LBB1_74:                               ;   Parent Loop BB1_13 Depth=1
                                        ;     Parent Loop BB1_27 Depth=2
                                        ;       Parent Loop BB1_41 Depth=3
                                        ;         Parent Loop BB1_71 Depth=4
                                        ; =>        This Inner Loop Header: Depth=5
	global_load_ubyte v3, v47, s[20:21]
	s_waitcnt vmcnt(0)
	v_and_b32_e32 v46, 0xffff, v3
	v_lshlrev_b64 v[12:13], s18, v[46:47]
	s_add_u32 s18, s18, 8
	s_addc_u32 s19, s19, 0
	s_add_u32 s20, s20, 1
	s_addc_u32 s21, s21, 0
	v_or_b32_e32 v10, v12, v10
	s_cmp_lg_u32 s16, s18
	v_or_b32_e32 v11, v13, v11
	s_cbranch_scc1 .LBB1_74
.LBB1_75:                               ;   in Loop: Header=BB1_71 Depth=4
	s_mov_b32 s20, 0
	s_andn2_b64 vcc, exec, s[4:5]
	s_mov_b64 s[4:5], s[10:11]
	s_cbranch_vccz .LBB1_77
	s_branch .LBB1_78
.LBB1_76:                               ;   in Loop: Header=BB1_71 Depth=4
                                        ; implicit-def: $sgpr20
	s_mov_b64 s[4:5], s[10:11]
.LBB1_77:                               ;   in Loop: Header=BB1_71 Depth=4
	global_load_dwordx2 v[10:11], v47, s[10:11]
	s_add_i32 s20, s14, -8
	s_add_u32 s4, s10, 8
	s_addc_u32 s5, s11, 0
.LBB1_78:                               ;   in Loop: Header=BB1_71 Depth=4
	s_cmp_gt_u32 s20, 7
	s_cbranch_scc1 .LBB1_82
; %bb.79:                               ;   in Loop: Header=BB1_71 Depth=4
	s_cmp_eq_u32 s20, 0
	s_cbranch_scc1 .LBB1_83
; %bb.80:                               ;   in Loop: Header=BB1_71 Depth=4
	s_mov_b64 s[16:17], 0
	v_pk_mov_b32 v[12:13], 0, 0
	s_mov_b64 s[18:19], 0
.LBB1_81:                               ;   Parent Loop BB1_13 Depth=1
                                        ;     Parent Loop BB1_27 Depth=2
                                        ;       Parent Loop BB1_41 Depth=3
                                        ;         Parent Loop BB1_71 Depth=4
                                        ; =>        This Inner Loop Header: Depth=5
	s_add_u32 s22, s4, s18
	s_addc_u32 s23, s5, s19
	global_load_ubyte v3, v47, s[22:23]
	s_add_u32 s18, s18, 1
	s_addc_u32 s19, s19, 0
	s_waitcnt vmcnt(0)
	v_and_b32_e32 v46, 0xffff, v3
	v_lshlrev_b64 v[14:15], s16, v[46:47]
	s_add_u32 s16, s16, 8
	s_addc_u32 s17, s17, 0
	v_or_b32_e32 v12, v14, v12
	s_cmp_lg_u32 s20, s18
	v_or_b32_e32 v13, v15, v13
	s_cbranch_scc1 .LBB1_81
	s_branch .LBB1_84
.LBB1_82:                               ;   in Loop: Header=BB1_71 Depth=4
                                        ; implicit-def: $vgpr12_vgpr13
                                        ; implicit-def: $sgpr21
	s_branch .LBB1_85
.LBB1_83:                               ;   in Loop: Header=BB1_71 Depth=4
	v_pk_mov_b32 v[12:13], 0, 0
.LBB1_84:                               ;   in Loop: Header=BB1_71 Depth=4
	s_mov_b32 s21, 0
	s_cbranch_execnz .LBB1_86
.LBB1_85:                               ;   in Loop: Header=BB1_71 Depth=4
	global_load_dwordx2 v[12:13], v47, s[4:5]
	s_add_i32 s21, s20, -8
	s_add_u32 s4, s4, 8
	s_addc_u32 s5, s5, 0
.LBB1_86:                               ;   in Loop: Header=BB1_71 Depth=4
	s_cmp_gt_u32 s21, 7
	s_cbranch_scc1 .LBB1_90
; %bb.87:                               ;   in Loop: Header=BB1_71 Depth=4
	s_cmp_eq_u32 s21, 0
	s_cbranch_scc1 .LBB1_91
; %bb.88:                               ;   in Loop: Header=BB1_71 Depth=4
	s_mov_b64 s[16:17], 0
	v_pk_mov_b32 v[14:15], 0, 0
	s_mov_b64 s[18:19], 0
.LBB1_89:                               ;   Parent Loop BB1_13 Depth=1
                                        ;     Parent Loop BB1_27 Depth=2
                                        ;       Parent Loop BB1_41 Depth=3
                                        ;         Parent Loop BB1_71 Depth=4
                                        ; =>        This Inner Loop Header: Depth=5
	s_add_u32 s22, s4, s18
	s_addc_u32 s23, s5, s19
	global_load_ubyte v3, v47, s[22:23]
	s_add_u32 s18, s18, 1
	s_addc_u32 s19, s19, 0
	s_waitcnt vmcnt(0)
	v_and_b32_e32 v46, 0xffff, v3
	v_lshlrev_b64 v[16:17], s16, v[46:47]
	s_add_u32 s16, s16, 8
	s_addc_u32 s17, s17, 0
	v_or_b32_e32 v14, v16, v14
	s_cmp_lg_u32 s21, s18
	v_or_b32_e32 v15, v17, v15
	s_cbranch_scc1 .LBB1_89
	s_branch .LBB1_92
.LBB1_90:                               ;   in Loop: Header=BB1_71 Depth=4
                                        ; implicit-def: $sgpr20
	s_branch .LBB1_93
.LBB1_91:                               ;   in Loop: Header=BB1_71 Depth=4
	v_pk_mov_b32 v[14:15], 0, 0
.LBB1_92:                               ;   in Loop: Header=BB1_71 Depth=4
	s_mov_b32 s20, 0
	s_cbranch_execnz .LBB1_94
.LBB1_93:                               ;   in Loop: Header=BB1_71 Depth=4
	global_load_dwordx2 v[14:15], v47, s[4:5]
	s_add_i32 s20, s21, -8
	s_add_u32 s4, s4, 8
	s_addc_u32 s5, s5, 0
.LBB1_94:                               ;   in Loop: Header=BB1_71 Depth=4
	s_cmp_gt_u32 s20, 7
	s_cbranch_scc1 .LBB1_98
; %bb.95:                               ;   in Loop: Header=BB1_71 Depth=4
	s_cmp_eq_u32 s20, 0
	s_cbranch_scc1 .LBB1_99
; %bb.96:                               ;   in Loop: Header=BB1_71 Depth=4
	s_mov_b64 s[16:17], 0
	v_pk_mov_b32 v[16:17], 0, 0
	s_mov_b64 s[18:19], 0
.LBB1_97:                               ;   Parent Loop BB1_13 Depth=1
                                        ;     Parent Loop BB1_27 Depth=2
                                        ;       Parent Loop BB1_41 Depth=3
                                        ;         Parent Loop BB1_71 Depth=4
                                        ; =>        This Inner Loop Header: Depth=5
	s_add_u32 s22, s4, s18
	s_addc_u32 s23, s5, s19
	global_load_ubyte v3, v47, s[22:23]
	s_add_u32 s18, s18, 1
	s_addc_u32 s19, s19, 0
	s_waitcnt vmcnt(0)
	v_and_b32_e32 v46, 0xffff, v3
	v_lshlrev_b64 v[18:19], s16, v[46:47]
	s_add_u32 s16, s16, 8
	s_addc_u32 s17, s17, 0
	v_or_b32_e32 v16, v18, v16
	s_cmp_lg_u32 s20, s18
	v_or_b32_e32 v17, v19, v17
	s_cbranch_scc1 .LBB1_97
	s_branch .LBB1_100
.LBB1_98:                               ;   in Loop: Header=BB1_71 Depth=4
                                        ; implicit-def: $vgpr16_vgpr17
                                        ; implicit-def: $sgpr21
	s_branch .LBB1_101
.LBB1_99:                               ;   in Loop: Header=BB1_71 Depth=4
	v_pk_mov_b32 v[16:17], 0, 0
.LBB1_100:                              ;   in Loop: Header=BB1_71 Depth=4
	s_mov_b32 s21, 0
	s_cbranch_execnz .LBB1_102
.LBB1_101:                              ;   in Loop: Header=BB1_71 Depth=4
	global_load_dwordx2 v[16:17], v47, s[4:5]
	s_add_i32 s21, s20, -8
	s_add_u32 s4, s4, 8
	s_addc_u32 s5, s5, 0
.LBB1_102:                              ;   in Loop: Header=BB1_71 Depth=4
	s_cmp_gt_u32 s21, 7
	s_cbranch_scc1 .LBB1_106
; %bb.103:                              ;   in Loop: Header=BB1_71 Depth=4
	s_cmp_eq_u32 s21, 0
	s_cbranch_scc1 .LBB1_107
; %bb.104:                              ;   in Loop: Header=BB1_71 Depth=4
	s_mov_b64 s[16:17], 0
	v_pk_mov_b32 v[18:19], 0, 0
	s_mov_b64 s[18:19], 0
.LBB1_105:                              ;   Parent Loop BB1_13 Depth=1
                                        ;     Parent Loop BB1_27 Depth=2
                                        ;       Parent Loop BB1_41 Depth=3
                                        ;         Parent Loop BB1_71 Depth=4
                                        ; =>        This Inner Loop Header: Depth=5
	s_add_u32 s22, s4, s18
	s_addc_u32 s23, s5, s19
	global_load_ubyte v3, v47, s[22:23]
	s_add_u32 s18, s18, 1
	s_addc_u32 s19, s19, 0
	s_waitcnt vmcnt(0)
	v_and_b32_e32 v46, 0xffff, v3
	v_lshlrev_b64 v[20:21], s16, v[46:47]
	s_add_u32 s16, s16, 8
	s_addc_u32 s17, s17, 0
	v_or_b32_e32 v18, v20, v18
	s_cmp_lg_u32 s21, s18
	v_or_b32_e32 v19, v21, v19
	s_cbranch_scc1 .LBB1_105
	s_branch .LBB1_108
.LBB1_106:                              ;   in Loop: Header=BB1_71 Depth=4
                                        ; implicit-def: $sgpr20
	s_branch .LBB1_109
.LBB1_107:                              ;   in Loop: Header=BB1_71 Depth=4
	v_pk_mov_b32 v[18:19], 0, 0
.LBB1_108:                              ;   in Loop: Header=BB1_71 Depth=4
	s_mov_b32 s20, 0
	s_cbranch_execnz .LBB1_110
.LBB1_109:                              ;   in Loop: Header=BB1_71 Depth=4
	global_load_dwordx2 v[18:19], v47, s[4:5]
	s_add_i32 s20, s21, -8
	s_add_u32 s4, s4, 8
	s_addc_u32 s5, s5, 0
.LBB1_110:                              ;   in Loop: Header=BB1_71 Depth=4
	s_cmp_gt_u32 s20, 7
	s_cbranch_scc1 .LBB1_114
; %bb.111:                              ;   in Loop: Header=BB1_71 Depth=4
	s_cmp_eq_u32 s20, 0
	s_cbranch_scc1 .LBB1_115
; %bb.112:                              ;   in Loop: Header=BB1_71 Depth=4
	s_mov_b64 s[16:17], 0
	v_pk_mov_b32 v[20:21], 0, 0
	s_mov_b64 s[18:19], 0
.LBB1_113:                              ;   Parent Loop BB1_13 Depth=1
                                        ;     Parent Loop BB1_27 Depth=2
                                        ;       Parent Loop BB1_41 Depth=3
                                        ;         Parent Loop BB1_71 Depth=4
                                        ; =>        This Inner Loop Header: Depth=5
	s_add_u32 s22, s4, s18
	s_addc_u32 s23, s5, s19
	global_load_ubyte v3, v47, s[22:23]
	s_add_u32 s18, s18, 1
	s_addc_u32 s19, s19, 0
	s_waitcnt vmcnt(0)
	v_and_b32_e32 v46, 0xffff, v3
	v_lshlrev_b64 v[22:23], s16, v[46:47]
	s_add_u32 s16, s16, 8
	s_addc_u32 s17, s17, 0
	v_or_b32_e32 v20, v22, v20
	s_cmp_lg_u32 s20, s18
	v_or_b32_e32 v21, v23, v21
	s_cbranch_scc1 .LBB1_113
	s_branch .LBB1_116
.LBB1_114:                              ;   in Loop: Header=BB1_71 Depth=4
                                        ; implicit-def: $vgpr20_vgpr21
                                        ; implicit-def: $sgpr21
	s_branch .LBB1_117
.LBB1_115:                              ;   in Loop: Header=BB1_71 Depth=4
	v_pk_mov_b32 v[20:21], 0, 0
.LBB1_116:                              ;   in Loop: Header=BB1_71 Depth=4
	s_mov_b32 s21, 0
	s_cbranch_execnz .LBB1_118
.LBB1_117:                              ;   in Loop: Header=BB1_71 Depth=4
	global_load_dwordx2 v[20:21], v47, s[4:5]
	s_add_i32 s21, s20, -8
	s_add_u32 s4, s4, 8
	s_addc_u32 s5, s5, 0
.LBB1_118:                              ;   in Loop: Header=BB1_71 Depth=4
	s_cmp_gt_u32 s21, 7
	s_cbranch_scc1 .LBB1_122
; %bb.119:                              ;   in Loop: Header=BB1_71 Depth=4
	s_cmp_eq_u32 s21, 0
	s_cbranch_scc1 .LBB1_123
; %bb.120:                              ;   in Loop: Header=BB1_71 Depth=4
	s_mov_b64 s[16:17], 0
	v_pk_mov_b32 v[22:23], 0, 0
	s_mov_b64 s[18:19], s[4:5]
.LBB1_121:                              ;   Parent Loop BB1_13 Depth=1
                                        ;     Parent Loop BB1_27 Depth=2
                                        ;       Parent Loop BB1_41 Depth=3
                                        ;         Parent Loop BB1_71 Depth=4
                                        ; =>        This Inner Loop Header: Depth=5
	global_load_ubyte v3, v47, s[18:19]
	s_add_i32 s21, s21, -1
	s_waitcnt vmcnt(0)
	v_and_b32_e32 v46, 0xffff, v3
	v_lshlrev_b64 v[24:25], s16, v[46:47]
	s_add_u32 s16, s16, 8
	s_addc_u32 s17, s17, 0
	s_add_u32 s18, s18, 1
	s_addc_u32 s19, s19, 0
	v_or_b32_e32 v22, v24, v22
	s_cmp_lg_u32 s21, 0
	v_or_b32_e32 v23, v25, v23
	s_cbranch_scc1 .LBB1_121
	s_branch .LBB1_124
.LBB1_122:                              ;   in Loop: Header=BB1_71 Depth=4
	s_branch .LBB1_125
.LBB1_123:                              ;   in Loop: Header=BB1_71 Depth=4
	v_pk_mov_b32 v[22:23], 0, 0
.LBB1_124:                              ;   in Loop: Header=BB1_71 Depth=4
	s_cbranch_execnz .LBB1_126
.LBB1_125:                              ;   in Loop: Header=BB1_71 Depth=4
	global_load_dwordx2 v[22:23], v47, s[4:5]
.LBB1_126:                              ;   in Loop: Header=BB1_71 Depth=4
	v_readfirstlane_b32 s4, v98
	v_cmp_eq_u32_e64 s[4:5], s4, v98
	v_pk_mov_b32 v[28:29], 0, 0
	s_and_saveexec_b64 s[16:17], s[4:5]
	s_cbranch_execz .LBB1_132
; %bb.127:                              ;   in Loop: Header=BB1_71 Depth=4
	global_load_dwordx2 v[26:27], v47, s[8:9] offset:24 glc
	s_waitcnt vmcnt(0)
	buffer_invl2
	buffer_wbinvl1_vol
	global_load_dwordx2 v[24:25], v47, s[8:9] offset:40
	global_load_dwordx2 v[28:29], v47, s[8:9]
	s_waitcnt vmcnt(1)
	v_and_b32_e32 v3, v24, v26
	v_and_b32_e32 v24, v25, v27
	v_mul_lo_u32 v24, v24, 24
	v_mul_hi_u32 v25, v3, 24
	v_mul_lo_u32 v3, v3, 24
	v_add_u32_e32 v25, v25, v24
	s_waitcnt vmcnt(0)
	v_add_co_u32_e32 v24, vcc, v28, v3
	v_addc_co_u32_e32 v25, vcc, v29, v25, vcc
	global_load_dwordx2 v[24:25], v[24:25], off glc
	s_waitcnt vmcnt(0)
	global_atomic_cmpswap_x2 v[28:29], v47, v[24:27], s[8:9] offset:24 glc
	s_waitcnt vmcnt(0)
	buffer_invl2
	buffer_wbinvl1_vol
	v_cmp_ne_u64_e32 vcc, v[28:29], v[26:27]
	s_and_saveexec_b64 s[18:19], vcc
	s_cbranch_execz .LBB1_131
; %bb.128:                              ;   in Loop: Header=BB1_71 Depth=4
	s_mov_b64 s[20:21], 0
.LBB1_129:                              ;   Parent Loop BB1_13 Depth=1
                                        ;     Parent Loop BB1_27 Depth=2
                                        ;       Parent Loop BB1_41 Depth=3
                                        ;         Parent Loop BB1_71 Depth=4
                                        ; =>        This Inner Loop Header: Depth=5
	s_sleep 1
	global_load_dwordx2 v[24:25], v47, s[8:9] offset:40
	global_load_dwordx2 v[30:31], v47, s[8:9]
	v_pk_mov_b32 v[26:27], v[28:29], v[28:29] op_sel:[0,1]
	s_waitcnt vmcnt(1)
	v_and_b32_e32 v24, v24, v26
	v_and_b32_e32 v3, v25, v27
	s_waitcnt vmcnt(0)
	v_mad_u64_u32 v[24:25], s[22:23], v24, 24, v[30:31]
	v_mov_b32_e32 v28, v25
	v_mad_u64_u32 v[28:29], s[22:23], v3, 24, v[28:29]
	v_mov_b32_e32 v25, v28
	global_load_dwordx2 v[24:25], v[24:25], off glc
	s_waitcnt vmcnt(0)
	global_atomic_cmpswap_x2 v[28:29], v47, v[24:27], s[8:9] offset:24 glc
	s_waitcnt vmcnt(0)
	buffer_invl2
	buffer_wbinvl1_vol
	v_cmp_eq_u64_e32 vcc, v[28:29], v[26:27]
	s_or_b64 s[20:21], vcc, s[20:21]
	s_andn2_b64 exec, exec, s[20:21]
	s_cbranch_execnz .LBB1_129
; %bb.130:                              ;   in Loop: Header=BB1_71 Depth=4
	s_or_b64 exec, exec, s[20:21]
.LBB1_131:                              ;   in Loop: Header=BB1_71 Depth=4
	s_or_b64 exec, exec, s[18:19]
.LBB1_132:                              ;   in Loop: Header=BB1_71 Depth=4
	s_or_b64 exec, exec, s[16:17]
	global_load_dwordx2 v[30:31], v47, s[8:9] offset:40
	global_load_dwordx4 v[24:27], v47, s[8:9]
	v_readfirstlane_b32 s16, v28
	v_readfirstlane_b32 s17, v29
	s_mov_b64 s[18:19], exec
	s_waitcnt vmcnt(1)
	v_readfirstlane_b32 s20, v30
	v_readfirstlane_b32 s21, v31
	s_and_b64 s[20:21], s[16:17], s[20:21]
	s_mul_i32 s22, s21, 24
	s_mul_hi_u32 s23, s20, 24
	s_mul_i32 s24, s20, 24
	s_add_i32 s22, s23, s22
	v_mov_b32_e32 v3, s22
	s_waitcnt vmcnt(0)
	v_add_co_u32_e32 v28, vcc, s24, v24
	v_addc_co_u32_e32 v29, vcc, v25, v3, vcc
	s_and_saveexec_b64 s[22:23], s[4:5]
	s_cbranch_execz .LBB1_134
; %bb.133:                              ;   in Loop: Header=BB1_71 Depth=4
	v_pk_mov_b32 v[56:57], s[18:19], s[18:19] op_sel:[0,1]
	global_store_dwordx4 v[28:29], v[56:59], off offset:8
.LBB1_134:                              ;   in Loop: Header=BB1_71 Depth=4
	s_or_b64 exec, exec, s[22:23]
	s_lshl_b64 s[18:19], s[20:21], 12
	v_mov_b32_e32 v3, s19
	v_add_co_u32_e32 v26, vcc, s18, v26
	v_addc_co_u32_e32 v3, vcc, v27, v3, vcc
	v_or_b32_e32 v27, 2, v8
	v_cmp_gt_u64_e64 vcc, s[12:13], 56
	s_lshl_b32 s18, s14, 2
	v_cndmask_b32_e32 v8, v27, v8, vcc
	s_add_i32 s18, s18, 28
	s_and_b32 s18, s18, 0x1e0
	v_and_b32_e32 v8, 0xffffff1f, v8
	v_or_b32_e32 v8, s18, v8
	v_readfirstlane_b32 s18, v26
	v_readfirstlane_b32 s19, v3
	s_nop 4
	global_store_dwordx4 v5, v[8:11], s[18:19]
	global_store_dwordx4 v5, v[12:15], s[18:19] offset:16
	global_store_dwordx4 v5, v[16:19], s[18:19] offset:32
	global_store_dwordx4 v5, v[20:23], s[18:19] offset:48
	s_and_saveexec_b64 s[18:19], s[4:5]
	s_cbranch_execz .LBB1_142
; %bb.135:                              ;   in Loop: Header=BB1_71 Depth=4
	global_load_dwordx2 v[16:17], v47, s[8:9] offset:32 glc
	global_load_dwordx2 v[8:9], v47, s[8:9] offset:40
	v_mov_b32_e32 v14, s16
	v_mov_b32_e32 v15, s17
	s_waitcnt vmcnt(0)
	v_readfirstlane_b32 s20, v8
	v_readfirstlane_b32 s21, v9
	s_and_b64 s[20:21], s[20:21], s[16:17]
	s_mul_i32 s21, s21, 24
	s_mul_hi_u32 s22, s20, 24
	s_mul_i32 s20, s20, 24
	s_add_i32 s21, s22, s21
	v_mov_b32_e32 v8, s21
	v_add_co_u32_e32 v12, vcc, s20, v24
	v_addc_co_u32_e32 v13, vcc, v25, v8, vcc
	global_store_dwordx2 v[12:13], v[16:17], off
	buffer_wbl2
	s_waitcnt vmcnt(0)
	global_atomic_cmpswap_x2 v[10:11], v47, v[14:17], s[8:9] offset:32 glc
	s_waitcnt vmcnt(0)
	v_cmp_ne_u64_e32 vcc, v[10:11], v[16:17]
	s_and_saveexec_b64 s[20:21], vcc
	s_cbranch_execz .LBB1_138
; %bb.136:                              ;   in Loop: Header=BB1_71 Depth=4
	s_mov_b64 s[22:23], 0
.LBB1_137:                              ;   Parent Loop BB1_13 Depth=1
                                        ;     Parent Loop BB1_27 Depth=2
                                        ;       Parent Loop BB1_41 Depth=3
                                        ;         Parent Loop BB1_71 Depth=4
                                        ; =>        This Inner Loop Header: Depth=5
	s_sleep 1
	global_store_dwordx2 v[12:13], v[10:11], off
	v_mov_b32_e32 v8, s16
	v_mov_b32_e32 v9, s17
	buffer_wbl2
	s_waitcnt vmcnt(0)
	global_atomic_cmpswap_x2 v[8:9], v47, v[8:11], s[8:9] offset:32 glc
	s_waitcnt vmcnt(0)
	v_cmp_eq_u64_e32 vcc, v[8:9], v[10:11]
	s_or_b64 s[22:23], vcc, s[22:23]
	v_pk_mov_b32 v[10:11], v[8:9], v[8:9] op_sel:[0,1]
	s_andn2_b64 exec, exec, s[22:23]
	s_cbranch_execnz .LBB1_137
.LBB1_138:                              ;   in Loop: Header=BB1_71 Depth=4
	s_or_b64 exec, exec, s[20:21]
	global_load_dwordx2 v[8:9], v47, s[8:9] offset:16
	s_mov_b64 s[22:23], exec
	v_mbcnt_lo_u32_b32 v10, s22, 0
	v_mbcnt_hi_u32_b32 v10, s23, v10
	v_cmp_eq_u32_e32 vcc, 0, v10
	s_and_saveexec_b64 s[20:21], vcc
	s_cbranch_execz .LBB1_140
; %bb.139:                              ;   in Loop: Header=BB1_71 Depth=4
	s_bcnt1_i32_b64 s22, s[22:23]
	v_mov_b32_e32 v46, s22
	buffer_wbl2
	s_waitcnt vmcnt(0)
	global_atomic_add_x2 v[8:9], v[46:47], off offset:8
.LBB1_140:                              ;   in Loop: Header=BB1_71 Depth=4
	s_or_b64 exec, exec, s[20:21]
	s_waitcnt vmcnt(0)
	global_load_dwordx2 v[10:11], v[8:9], off offset:16
	s_waitcnt vmcnt(0)
	v_cmp_eq_u64_e32 vcc, 0, v[10:11]
	s_cbranch_vccnz .LBB1_142
; %bb.141:                              ;   in Loop: Header=BB1_71 Depth=4
	global_load_dword v46, v[8:9], off offset:24
	s_waitcnt vmcnt(0)
	v_and_b32_e32 v8, 0xffffff, v46
	v_readfirstlane_b32 m0, v8
	buffer_wbl2
	global_store_dwordx2 v[10:11], v[46:47], off
	s_sendmsg sendmsg(MSG_INTERRUPT)
.LBB1_142:                              ;   in Loop: Header=BB1_71 Depth=4
	s_or_b64 exec, exec, s[18:19]
	v_add_co_u32_e32 v8, vcc, v26, v5
	v_addc_co_u32_e32 v9, vcc, 0, v3, vcc
	s_branch .LBB1_146
.LBB1_143:                              ;   in Loop: Header=BB1_146 Depth=5
	s_or_b64 exec, exec, s[18:19]
	v_readfirstlane_b32 s18, v3
	s_cmp_eq_u32 s18, 0
	s_cbranch_scc1 .LBB1_145
; %bb.144:                              ;   in Loop: Header=BB1_146 Depth=5
	s_sleep 1
	s_cbranch_execnz .LBB1_146
	s_branch .LBB1_148
.LBB1_145:                              ;   in Loop: Header=BB1_71 Depth=4
	s_branch .LBB1_148
.LBB1_146:                              ;   Parent Loop BB1_13 Depth=1
                                        ;     Parent Loop BB1_27 Depth=2
                                        ;       Parent Loop BB1_41 Depth=3
                                        ;         Parent Loop BB1_71 Depth=4
                                        ; =>        This Inner Loop Header: Depth=5
	v_mov_b32_e32 v3, 1
	s_and_saveexec_b64 s[18:19], s[4:5]
	s_cbranch_execz .LBB1_143
; %bb.147:                              ;   in Loop: Header=BB1_146 Depth=5
	global_load_dword v3, v[28:29], off offset:20 glc
	s_waitcnt vmcnt(0)
	buffer_invl2
	buffer_wbinvl1_vol
	v_and_b32_e32 v3, 1, v3
	s_branch .LBB1_143
.LBB1_148:                              ;   in Loop: Header=BB1_71 Depth=4
	global_load_dwordx4 v[8:11], v[8:9], off
	s_and_saveexec_b64 s[18:19], s[4:5]
	s_cbranch_execz .LBB1_70
; %bb.149:                              ;   in Loop: Header=BB1_71 Depth=4
	global_load_dwordx2 v[14:15], v47, s[8:9] offset:40
	global_load_dwordx2 v[16:17], v47, s[8:9] offset:24 glc
	global_load_dwordx2 v[18:19], v47, s[8:9]
	v_mov_b32_e32 v3, s17
	s_waitcnt vmcnt(2)
	v_add_co_u32_e32 v13, vcc, 1, v14
	v_addc_co_u32_e32 v20, vcc, 0, v15, vcc
	v_add_co_u32_e32 v10, vcc, s16, v13
	v_addc_co_u32_e32 v11, vcc, v20, v3, vcc
	v_cmp_eq_u64_e32 vcc, 0, v[10:11]
	v_cndmask_b32_e32 v11, v11, v20, vcc
	v_cndmask_b32_e32 v10, v10, v13, vcc
	v_and_b32_e32 v3, v11, v15
	v_and_b32_e32 v13, v10, v14
	v_mul_lo_u32 v3, v3, 24
	v_mul_hi_u32 v14, v13, 24
	v_mul_lo_u32 v13, v13, 24
	v_add_u32_e32 v3, v14, v3
	s_waitcnt vmcnt(0)
	v_add_co_u32_e32 v14, vcc, v18, v13
	v_addc_co_u32_e32 v15, vcc, v19, v3, vcc
	v_mov_b32_e32 v12, v16
	global_store_dwordx2 v[14:15], v[16:17], off
	v_mov_b32_e32 v13, v17
	buffer_wbl2
	s_waitcnt vmcnt(0)
	global_atomic_cmpswap_x2 v[12:13], v47, v[10:13], s[8:9] offset:24 glc
	s_waitcnt vmcnt(0)
	v_cmp_ne_u64_e32 vcc, v[12:13], v[16:17]
	s_and_b64 exec, exec, vcc
	s_cbranch_execz .LBB1_70
; %bb.150:                              ;   in Loop: Header=BB1_71 Depth=4
	s_mov_b64 s[4:5], 0
.LBB1_151:                              ;   Parent Loop BB1_13 Depth=1
                                        ;     Parent Loop BB1_27 Depth=2
                                        ;       Parent Loop BB1_41 Depth=3
                                        ;         Parent Loop BB1_71 Depth=4
                                        ; =>        This Inner Loop Header: Depth=5
	s_sleep 1
	global_store_dwordx2 v[14:15], v[12:13], off
	buffer_wbl2
	s_waitcnt vmcnt(0)
	global_atomic_cmpswap_x2 v[16:17], v47, v[10:13], s[8:9] offset:24 glc
	s_waitcnt vmcnt(0)
	v_cmp_eq_u64_e32 vcc, v[16:17], v[12:13]
	s_or_b64 s[4:5], vcc, s[4:5]
	v_pk_mov_b32 v[12:13], v[16:17], v[16:17] op_sel:[0,1]
	s_andn2_b64 exec, exec, s[4:5]
	s_cbranch_execnz .LBB1_151
	s_branch .LBB1_70
.LBB1_152:                              ;   in Loop: Header=BB1_41 Depth=3
	s_branch .LBB1_180
.LBB1_153:                              ;   in Loop: Header=BB1_41 Depth=3
	s_cbranch_execz .LBB1_180
; %bb.154:                              ;   in Loop: Header=BB1_41 Depth=3
	v_readfirstlane_b32 s4, v98
	v_cmp_eq_u32_e64 s[4:5], s4, v98
	s_waitcnt vmcnt(0)
	v_pk_mov_b32 v[8:9], 0, 0
	s_and_saveexec_b64 s[10:11], s[4:5]
	s_cbranch_execz .LBB1_160
; %bb.155:                              ;   in Loop: Header=BB1_41 Depth=3
	global_load_dwordx2 v[10:11], v47, s[8:9] offset:24 glc
	s_waitcnt vmcnt(0)
	buffer_invl2
	buffer_wbinvl1_vol
	global_load_dwordx2 v[8:9], v47, s[8:9] offset:40
	global_load_dwordx2 v[12:13], v47, s[8:9]
	s_waitcnt vmcnt(1)
	v_and_b32_e32 v3, v8, v10
	v_and_b32_e32 v8, v9, v11
	v_mul_lo_u32 v8, v8, 24
	v_mul_hi_u32 v9, v3, 24
	v_mul_lo_u32 v3, v3, 24
	v_add_u32_e32 v9, v9, v8
	s_waitcnt vmcnt(0)
	v_add_co_u32_e32 v8, vcc, v12, v3
	v_addc_co_u32_e32 v9, vcc, v13, v9, vcc
	global_load_dwordx2 v[8:9], v[8:9], off glc
	s_waitcnt vmcnt(0)
	global_atomic_cmpswap_x2 v[8:9], v47, v[8:11], s[8:9] offset:24 glc
	s_waitcnt vmcnt(0)
	buffer_invl2
	buffer_wbinvl1_vol
	v_cmp_ne_u64_e32 vcc, v[8:9], v[10:11]
	s_and_saveexec_b64 s[12:13], vcc
	s_cbranch_execz .LBB1_159
; %bb.156:                              ;   in Loop: Header=BB1_41 Depth=3
	s_mov_b64 s[14:15], 0
.LBB1_157:                              ;   Parent Loop BB1_13 Depth=1
                                        ;     Parent Loop BB1_27 Depth=2
                                        ;       Parent Loop BB1_41 Depth=3
                                        ; =>      This Inner Loop Header: Depth=4
	s_sleep 1
	global_load_dwordx2 v[12:13], v47, s[8:9] offset:40
	global_load_dwordx2 v[14:15], v47, s[8:9]
	v_pk_mov_b32 v[10:11], v[8:9], v[8:9] op_sel:[0,1]
	s_waitcnt vmcnt(1)
	v_and_b32_e32 v8, v12, v10
	s_waitcnt vmcnt(0)
	v_mad_u64_u32 v[8:9], s[16:17], v8, 24, v[14:15]
	v_and_b32_e32 v3, v13, v11
	v_mov_b32_e32 v12, v9
	v_mad_u64_u32 v[12:13], s[16:17], v3, 24, v[12:13]
	v_mov_b32_e32 v9, v12
	global_load_dwordx2 v[8:9], v[8:9], off glc
	s_waitcnt vmcnt(0)
	global_atomic_cmpswap_x2 v[8:9], v47, v[8:11], s[8:9] offset:24 glc
	s_waitcnt vmcnt(0)
	buffer_invl2
	buffer_wbinvl1_vol
	v_cmp_eq_u64_e32 vcc, v[8:9], v[10:11]
	s_or_b64 s[14:15], vcc, s[14:15]
	s_andn2_b64 exec, exec, s[14:15]
	s_cbranch_execnz .LBB1_157
; %bb.158:                              ;   in Loop: Header=BB1_41 Depth=3
	s_or_b64 exec, exec, s[14:15]
.LBB1_159:                              ;   in Loop: Header=BB1_41 Depth=3
	s_or_b64 exec, exec, s[12:13]
.LBB1_160:                              ;   in Loop: Header=BB1_41 Depth=3
	s_or_b64 exec, exec, s[10:11]
	global_load_dwordx2 v[14:15], v47, s[8:9] offset:40
	global_load_dwordx4 v[10:13], v47, s[8:9]
	v_readfirstlane_b32 s10, v8
	v_readfirstlane_b32 s11, v9
	s_mov_b64 s[12:13], exec
	s_waitcnt vmcnt(1)
	v_readfirstlane_b32 s14, v14
	v_readfirstlane_b32 s15, v15
	s_and_b64 s[14:15], s[10:11], s[14:15]
	s_mul_i32 s16, s15, 24
	s_mul_hi_u32 s17, s14, 24
	s_mul_i32 s18, s14, 24
	s_add_i32 s16, s17, s16
	v_mov_b32_e32 v3, s16
	s_waitcnt vmcnt(0)
	v_add_co_u32_e32 v14, vcc, s18, v10
	v_addc_co_u32_e32 v15, vcc, v11, v3, vcc
	s_and_saveexec_b64 s[16:17], s[4:5]
	s_cbranch_execz .LBB1_162
; %bb.161:                              ;   in Loop: Header=BB1_41 Depth=3
	v_pk_mov_b32 v[56:57], s[12:13], s[12:13] op_sel:[0,1]
	global_store_dwordx4 v[14:15], v[56:59], off offset:8
.LBB1_162:                              ;   in Loop: Header=BB1_41 Depth=3
	s_or_b64 exec, exec, s[16:17]
	s_lshl_b64 s[12:13], s[14:15], 12
	v_mov_b32_e32 v3, s13
	v_add_co_u32_e32 v12, vcc, s12, v12
	v_addc_co_u32_e32 v3, vcc, v13, v3, vcc
	v_and_or_b32 v6, v6, s37, 34
	v_mov_b32_e32 v8, v47
	v_mov_b32_e32 v9, v47
	v_readfirstlane_b32 s12, v12
	v_readfirstlane_b32 s13, v3
	s_mov_b32 s61, s60
	s_mov_b32 s62, s60
	;; [unrolled: 1-line block ×3, first 2 shown]
	s_nop 1
	global_store_dwordx4 v5, v[6:9], s[12:13]
	s_nop 0
	v_pk_mov_b32 v[6:7], s[60:61], s[60:61] op_sel:[0,1]
	v_pk_mov_b32 v[8:9], s[62:63], s[62:63] op_sel:[0,1]
	global_store_dwordx4 v5, v[6:9], s[12:13] offset:16
	global_store_dwordx4 v5, v[6:9], s[12:13] offset:32
	;; [unrolled: 1-line block ×3, first 2 shown]
	s_and_saveexec_b64 s[12:13], s[4:5]
	s_cbranch_execz .LBB1_170
; %bb.163:                              ;   in Loop: Header=BB1_41 Depth=3
	global_load_dwordx2 v[18:19], v47, s[8:9] offset:32 glc
	global_load_dwordx2 v[6:7], v47, s[8:9] offset:40
	v_mov_b32_e32 v16, s10
	v_mov_b32_e32 v17, s11
	s_waitcnt vmcnt(0)
	v_readfirstlane_b32 s14, v6
	v_readfirstlane_b32 s15, v7
	s_and_b64 s[14:15], s[14:15], s[10:11]
	s_mul_i32 s15, s15, 24
	s_mul_hi_u32 s16, s14, 24
	s_mul_i32 s14, s14, 24
	s_add_i32 s15, s16, s15
	v_mov_b32_e32 v3, s15
	v_add_co_u32_e32 v10, vcc, s14, v10
	v_addc_co_u32_e32 v11, vcc, v11, v3, vcc
	global_store_dwordx2 v[10:11], v[18:19], off
	buffer_wbl2
	s_waitcnt vmcnt(0)
	global_atomic_cmpswap_x2 v[8:9], v47, v[16:19], s[8:9] offset:32 glc
	s_waitcnt vmcnt(0)
	v_cmp_ne_u64_e32 vcc, v[8:9], v[18:19]
	s_and_saveexec_b64 s[14:15], vcc
	s_cbranch_execz .LBB1_166
; %bb.164:                              ;   in Loop: Header=BB1_41 Depth=3
	s_mov_b64 s[16:17], 0
.LBB1_165:                              ;   Parent Loop BB1_13 Depth=1
                                        ;     Parent Loop BB1_27 Depth=2
                                        ;       Parent Loop BB1_41 Depth=3
                                        ; =>      This Inner Loop Header: Depth=4
	s_sleep 1
	global_store_dwordx2 v[10:11], v[8:9], off
	v_mov_b32_e32 v6, s10
	v_mov_b32_e32 v7, s11
	buffer_wbl2
	s_waitcnt vmcnt(0)
	global_atomic_cmpswap_x2 v[6:7], v47, v[6:9], s[8:9] offset:32 glc
	s_waitcnt vmcnt(0)
	v_cmp_eq_u64_e32 vcc, v[6:7], v[8:9]
	s_or_b64 s[16:17], vcc, s[16:17]
	v_pk_mov_b32 v[8:9], v[6:7], v[6:7] op_sel:[0,1]
	s_andn2_b64 exec, exec, s[16:17]
	s_cbranch_execnz .LBB1_165
.LBB1_166:                              ;   in Loop: Header=BB1_41 Depth=3
	s_or_b64 exec, exec, s[14:15]
	global_load_dwordx2 v[6:7], v47, s[8:9] offset:16
	s_mov_b64 s[16:17], exec
	v_mbcnt_lo_u32_b32 v3, s16, 0
	v_mbcnt_hi_u32_b32 v3, s17, v3
	v_cmp_eq_u32_e32 vcc, 0, v3
	s_and_saveexec_b64 s[14:15], vcc
	s_cbranch_execz .LBB1_168
; %bb.167:                              ;   in Loop: Header=BB1_41 Depth=3
	s_bcnt1_i32_b64 s16, s[16:17]
	v_mov_b32_e32 v46, s16
	buffer_wbl2
	s_waitcnt vmcnt(0)
	global_atomic_add_x2 v[6:7], v[46:47], off offset:8
.LBB1_168:                              ;   in Loop: Header=BB1_41 Depth=3
	s_or_b64 exec, exec, s[14:15]
	s_waitcnt vmcnt(0)
	global_load_dwordx2 v[8:9], v[6:7], off offset:16
	s_waitcnt vmcnt(0)
	v_cmp_eq_u64_e32 vcc, 0, v[8:9]
	s_cbranch_vccnz .LBB1_170
; %bb.169:                              ;   in Loop: Header=BB1_41 Depth=3
	global_load_dword v46, v[6:7], off offset:24
	s_waitcnt vmcnt(0)
	v_and_b32_e32 v3, 0xffffff, v46
	v_readfirstlane_b32 m0, v3
	buffer_wbl2
	global_store_dwordx2 v[8:9], v[46:47], off
	s_sendmsg sendmsg(MSG_INTERRUPT)
.LBB1_170:                              ;   in Loop: Header=BB1_41 Depth=3
	s_or_b64 exec, exec, s[12:13]
	s_branch .LBB1_174
.LBB1_171:                              ;   in Loop: Header=BB1_174 Depth=4
	s_or_b64 exec, exec, s[12:13]
	v_readfirstlane_b32 s12, v3
	s_cmp_eq_u32 s12, 0
	s_cbranch_scc1 .LBB1_173
; %bb.172:                              ;   in Loop: Header=BB1_174 Depth=4
	s_sleep 1
	s_cbranch_execnz .LBB1_174
	s_branch .LBB1_176
.LBB1_173:                              ;   in Loop: Header=BB1_41 Depth=3
	s_branch .LBB1_176
.LBB1_174:                              ;   Parent Loop BB1_13 Depth=1
                                        ;     Parent Loop BB1_27 Depth=2
                                        ;       Parent Loop BB1_41 Depth=3
                                        ; =>      This Inner Loop Header: Depth=4
	v_mov_b32_e32 v3, 1
	s_and_saveexec_b64 s[12:13], s[4:5]
	s_cbranch_execz .LBB1_171
; %bb.175:                              ;   in Loop: Header=BB1_174 Depth=4
	global_load_dword v3, v[14:15], off offset:20 glc
	s_waitcnt vmcnt(0)
	buffer_invl2
	buffer_wbinvl1_vol
	v_and_b32_e32 v3, 1, v3
	s_branch .LBB1_171
.LBB1_176:                              ;   in Loop: Header=BB1_41 Depth=3
	s_and_b64 exec, exec, s[4:5]
	s_cbranch_execz .LBB1_180
; %bb.177:                              ;   in Loop: Header=BB1_41 Depth=3
	global_load_dwordx2 v[10:11], v47, s[8:9] offset:40
	global_load_dwordx2 v[12:13], v47, s[8:9] offset:24 glc
	global_load_dwordx2 v[14:15], v47, s[8:9]
	v_mov_b32_e32 v3, s11
	s_waitcnt vmcnt(2)
	v_add_co_u32_e32 v5, vcc, 1, v10
	v_addc_co_u32_e32 v9, vcc, 0, v11, vcc
	v_add_co_u32_e32 v6, vcc, s10, v5
	v_addc_co_u32_e32 v7, vcc, v9, v3, vcc
	v_cmp_eq_u64_e32 vcc, 0, v[6:7]
	v_cndmask_b32_e32 v7, v7, v9, vcc
	v_cndmask_b32_e32 v6, v6, v5, vcc
	v_and_b32_e32 v3, v7, v11
	v_and_b32_e32 v5, v6, v10
	v_mul_lo_u32 v3, v3, 24
	v_mul_hi_u32 v9, v5, 24
	v_mul_lo_u32 v5, v5, 24
	v_add_u32_e32 v3, v9, v3
	s_waitcnt vmcnt(0)
	v_add_co_u32_e32 v10, vcc, v14, v5
	v_addc_co_u32_e32 v11, vcc, v15, v3, vcc
	v_mov_b32_e32 v8, v12
	global_store_dwordx2 v[10:11], v[12:13], off
	v_mov_b32_e32 v9, v13
	buffer_wbl2
	s_waitcnt vmcnt(0)
	global_atomic_cmpswap_x2 v[8:9], v47, v[6:9], s[8:9] offset:24 glc
	s_waitcnt vmcnt(0)
	v_cmp_ne_u64_e32 vcc, v[8:9], v[12:13]
	s_and_b64 exec, exec, vcc
	s_cbranch_execz .LBB1_180
; %bb.178:                              ;   in Loop: Header=BB1_41 Depth=3
	s_mov_b64 s[4:5], 0
.LBB1_179:                              ;   Parent Loop BB1_13 Depth=1
                                        ;     Parent Loop BB1_27 Depth=2
                                        ;       Parent Loop BB1_41 Depth=3
                                        ; =>      This Inner Loop Header: Depth=4
	s_sleep 1
	global_store_dwordx2 v[10:11], v[8:9], off
	buffer_wbl2
	s_waitcnt vmcnt(0)
	global_atomic_cmpswap_x2 v[12:13], v47, v[6:9], s[8:9] offset:24 glc
	s_waitcnt vmcnt(0)
	v_cmp_eq_u64_e32 vcc, v[12:13], v[8:9]
	s_or_b64 s[4:5], vcc, s[4:5]
	v_pk_mov_b32 v[8:9], v[12:13], v[12:13] op_sel:[0,1]
	s_andn2_b64 exec, exec, s[4:5]
	s_cbranch_execnz .LBB1_179
.LBB1_180:                              ;   in Loop: Header=BB1_41 Depth=3
	s_or_b64 exec, exec, s[6:7]
	s_waitcnt vmcnt(0)
	v_add_co_u32_e32 v6, vcc, v108, v2
	v_addc_co_u32_e32 v7, vcc, 0, v109, vcc
	global_load_ubyte v5, v[6:7], off
	s_waitcnt vmcnt(0)
	v_cmp_ne_u16_e32 vcc, s88, v5
	s_and_saveexec_b64 s[4:5], vcc
	s_cbranch_execz .LBB1_40
; %bb.181:                              ;   in Loop: Header=BB1_41 Depth=3
	v_add_co_u32_e32 v2, vcc, v110, v2
	v_addc_co_u32_e32 v3, vcc, 0, v111, vcc
	global_load_sbyte v2, v[2:3], off
	s_waitcnt vmcnt(0)
	v_subrev_u32_e32 v6, s33, v2
	v_cmp_lt_i32_e32 vcc, 9, v6
	s_and_saveexec_b64 s[6:7], vcc
	s_cbranch_execz .LBB1_186
; %bb.182:                              ;   in Loop: Header=BB1_41 Depth=3
	v_cmp_lt_i16_e32 vcc, s89, v5
	s_mov_b64 s[8:9], 0
                                        ; implicit-def: $vgpr2_vgpr3
	s_and_saveexec_b64 s[10:11], vcc
	s_xor_b64 s[10:11], exec, s[10:11]
	s_cbranch_execnz .LBB1_190
; %bb.183:                              ;   in Loop: Header=BB1_41 Depth=3
	s_andn2_saveexec_b64 s[10:11], s[10:11]
	s_cbranch_execnz .LBB1_199
.LBB1_184:                              ;   in Loop: Header=BB1_41 Depth=3
	s_or_b64 exec, exec, s[10:11]
	s_and_b64 exec, exec, s[8:9]
	s_cbranch_execz .LBB1_186
.LBB1_185:                              ;   in Loop: Header=BB1_41 Depth=3
	flat_atomic_add v[2:3], v97
.LBB1_186:                              ;   in Loop: Header=BB1_41 Depth=3
	s_or_b64 exec, exec, s[6:7]
	v_cmp_lt_i32_e32 vcc, 19, v6
	s_and_b64 exec, exec, vcc
	s_cbranch_execz .LBB1_40
; %bb.187:                              ;   in Loop: Header=BB1_41 Depth=3
	v_cmp_lt_i16_e32 vcc, s89, v5
	s_mov_b64 s[6:7], 0
                                        ; implicit-def: $vgpr2_vgpr3
	s_and_saveexec_b64 s[8:9], vcc
	s_xor_b64 s[8:9], exec, s[8:9]
	s_cbranch_execnz .LBB1_206
; %bb.188:                              ;   in Loop: Header=BB1_41 Depth=3
	s_andn2_saveexec_b64 s[8:9], s[8:9]
	s_cbranch_execnz .LBB1_215
.LBB1_189:                              ;   in Loop: Header=BB1_41 Depth=3
	s_or_b64 exec, exec, s[8:9]
	s_and_b64 exec, exec, s[6:7]
	s_cbranch_execz .LBB1_40
	s_branch .LBB1_222
.LBB1_190:                              ;   in Loop: Header=BB1_41 Depth=3
	v_cmp_lt_i16_e32 vcc, s90, v5
                                        ; implicit-def: $vgpr2_vgpr3
	s_and_saveexec_b64 s[12:13], vcc
	s_xor_b64 s[12:13], exec, s[12:13]
	s_cbranch_execz .LBB1_194
; %bb.191:                              ;   in Loop: Header=BB1_41 Depth=3
	v_cmp_eq_u16_e32 vcc, s91, v5
                                        ; implicit-def: $vgpr2_vgpr3
	s_and_saveexec_b64 s[14:15], vcc
; %bb.192:                              ;   in Loop: Header=BB1_41 Depth=3
	v_add_co_u32_e32 v2, vcc, 44, v0
	s_mov_b64 s[8:9], exec
	v_addc_co_u32_e32 v3, vcc, 0, v1, vcc
; %bb.193:                              ;   in Loop: Header=BB1_41 Depth=3
	s_or_b64 exec, exec, s[14:15]
	s_and_b64 s[8:9], s[8:9], exec
.LBB1_194:                              ;   in Loop: Header=BB1_41 Depth=3
	s_andn2_saveexec_b64 s[12:13], s[12:13]
	s_cbranch_execz .LBB1_198
; %bb.195:                              ;   in Loop: Header=BB1_41 Depth=3
	v_cmp_eq_u16_e32 vcc, s92, v5
	s_mov_b64 s[14:15], s[8:9]
                                        ; implicit-def: $vgpr2_vgpr3
	s_and_saveexec_b64 s[16:17], vcc
; %bb.196:                              ;   in Loop: Header=BB1_41 Depth=3
	v_add_co_u32_e32 v2, vcc, 40, v0
	v_addc_co_u32_e32 v3, vcc, 0, v1, vcc
	s_or_b64 s[14:15], s[8:9], exec
; %bb.197:                              ;   in Loop: Header=BB1_41 Depth=3
	s_or_b64 exec, exec, s[16:17]
	s_andn2_b64 s[8:9], s[8:9], exec
	s_and_b64 s[14:15], s[14:15], exec
	s_or_b64 s[8:9], s[8:9], s[14:15]
.LBB1_198:                              ;   in Loop: Header=BB1_41 Depth=3
	s_or_b64 exec, exec, s[12:13]
	s_and_b64 s[8:9], s[8:9], exec
	s_andn2_saveexec_b64 s[10:11], s[10:11]
	s_cbranch_execz .LBB1_184
.LBB1_199:                              ;   in Loop: Header=BB1_41 Depth=3
	v_cmp_lt_i16_e32 vcc, s93, v5
	s_mov_b64 s[12:13], s[8:9]
                                        ; implicit-def: $vgpr2_vgpr3
	s_and_saveexec_b64 s[14:15], vcc
	s_xor_b64 s[14:15], exec, s[14:15]
	s_cbranch_execz .LBB1_203
; %bb.200:                              ;   in Loop: Header=BB1_41 Depth=3
	v_cmp_eq_u16_e32 vcc, s94, v5
	s_mov_b64 s[12:13], s[8:9]
                                        ; implicit-def: $vgpr2_vgpr3
	s_and_saveexec_b64 s[16:17], vcc
; %bb.201:                              ;   in Loop: Header=BB1_41 Depth=3
	v_add_co_u32_e32 v2, vcc, 36, v0
	v_addc_co_u32_e32 v3, vcc, 0, v1, vcc
	s_or_b64 s[12:13], s[8:9], exec
; %bb.202:                              ;   in Loop: Header=BB1_41 Depth=3
	s_or_b64 exec, exec, s[16:17]
	s_andn2_b64 s[16:17], s[8:9], exec
	s_and_b64 s[12:13], s[12:13], exec
	s_or_b64 s[12:13], s[16:17], s[12:13]
.LBB1_203:                              ;   in Loop: Header=BB1_41 Depth=3
	s_andn2_saveexec_b64 s[14:15], s[14:15]
; %bb.204:                              ;   in Loop: Header=BB1_41 Depth=3
	v_add_co_u32_e32 v2, vcc, 32, v0
	v_addc_co_u32_e32 v3, vcc, 0, v1, vcc
	v_cmp_eq_u16_e32 vcc, s95, v5
	s_andn2_b64 s[12:13], s[12:13], exec
	s_and_b64 s[16:17], vcc, exec
	s_or_b64 s[12:13], s[12:13], s[16:17]
; %bb.205:                              ;   in Loop: Header=BB1_41 Depth=3
	s_or_b64 exec, exec, s[14:15]
	s_andn2_b64 s[8:9], s[8:9], exec
	s_and_b64 s[12:13], s[12:13], exec
	s_or_b64 s[8:9], s[8:9], s[12:13]
	s_or_b64 exec, exec, s[10:11]
	s_and_b64 exec, exec, s[8:9]
	s_cbranch_execnz .LBB1_185
	s_branch .LBB1_186
.LBB1_206:                              ;   in Loop: Header=BB1_41 Depth=3
	v_cmp_lt_i16_e32 vcc, s90, v5
                                        ; implicit-def: $vgpr2_vgpr3
	s_and_saveexec_b64 s[10:11], vcc
	s_xor_b64 s[10:11], exec, s[10:11]
	s_cbranch_execz .LBB1_210
; %bb.207:                              ;   in Loop: Header=BB1_41 Depth=3
	v_cmp_eq_u16_e32 vcc, s91, v5
                                        ; implicit-def: $vgpr2_vgpr3
	s_and_saveexec_b64 s[12:13], vcc
; %bb.208:                              ;   in Loop: Header=BB1_41 Depth=3
	v_add_co_u32_e32 v2, vcc, 28, v0
	s_mov_b64 s[6:7], exec
	v_addc_co_u32_e32 v3, vcc, 0, v1, vcc
; %bb.209:                              ;   in Loop: Header=BB1_41 Depth=3
	s_or_b64 exec, exec, s[12:13]
	s_and_b64 s[6:7], s[6:7], exec
                                        ; implicit-def: $vgpr5
                                        ; implicit-def: $vgpr0
                                        ; implicit-def: $vgpr1
.LBB1_210:                              ;   in Loop: Header=BB1_41 Depth=3
	s_andn2_saveexec_b64 s[10:11], s[10:11]
	s_cbranch_execz .LBB1_214
; %bb.211:                              ;   in Loop: Header=BB1_41 Depth=3
	v_cmp_eq_u16_e32 vcc, s92, v5
	s_mov_b64 s[12:13], s[6:7]
                                        ; implicit-def: $vgpr2_vgpr3
	s_and_saveexec_b64 s[14:15], vcc
; %bb.212:                              ;   in Loop: Header=BB1_41 Depth=3
	v_add_co_u32_e32 v2, vcc, 24, v0
	v_addc_co_u32_e32 v3, vcc, 0, v1, vcc
	s_or_b64 s[12:13], s[6:7], exec
; %bb.213:                              ;   in Loop: Header=BB1_41 Depth=3
	s_or_b64 exec, exec, s[14:15]
	s_andn2_b64 s[6:7], s[6:7], exec
	s_and_b64 s[12:13], s[12:13], exec
	s_or_b64 s[6:7], s[6:7], s[12:13]
.LBB1_214:                              ;   in Loop: Header=BB1_41 Depth=3
	s_or_b64 exec, exec, s[10:11]
	s_and_b64 s[6:7], s[6:7], exec
                                        ; implicit-def: $vgpr0
                                        ; implicit-def: $vgpr1
                                        ; implicit-def: $vgpr5
	s_andn2_saveexec_b64 s[8:9], s[8:9]
	s_cbranch_execz .LBB1_189
.LBB1_215:                              ;   in Loop: Header=BB1_41 Depth=3
	v_cmp_lt_i16_e32 vcc, s93, v5
	s_mov_b64 s[10:11], s[6:7]
                                        ; implicit-def: $vgpr2_vgpr3
	s_and_saveexec_b64 s[12:13], vcc
	s_xor_b64 s[12:13], exec, s[12:13]
	s_cbranch_execz .LBB1_219
; %bb.216:                              ;   in Loop: Header=BB1_41 Depth=3
	v_cmp_eq_u16_e32 vcc, s94, v5
	s_mov_b64 s[10:11], s[6:7]
                                        ; implicit-def: $vgpr2_vgpr3
	s_and_saveexec_b64 s[14:15], vcc
; %bb.217:                              ;   in Loop: Header=BB1_41 Depth=3
	v_add_co_u32_e32 v2, vcc, 20, v0
	v_addc_co_u32_e32 v3, vcc, 0, v1, vcc
	s_or_b64 s[10:11], s[6:7], exec
; %bb.218:                              ;   in Loop: Header=BB1_41 Depth=3
	s_or_b64 exec, exec, s[14:15]
	s_andn2_b64 s[14:15], s[6:7], exec
	s_and_b64 s[10:11], s[10:11], exec
	s_or_b64 s[10:11], s[14:15], s[10:11]
                                        ; implicit-def: $vgpr0
                                        ; implicit-def: $vgpr1
                                        ; implicit-def: $vgpr5
.LBB1_219:                              ;   in Loop: Header=BB1_41 Depth=3
	s_andn2_saveexec_b64 s[12:13], s[12:13]
; %bb.220:                              ;   in Loop: Header=BB1_41 Depth=3
	v_add_co_u32_e32 v2, vcc, 16, v0
	v_addc_co_u32_e32 v3, vcc, 0, v1, vcc
	v_cmp_eq_u16_e32 vcc, s95, v5
	s_andn2_b64 s[10:11], s[10:11], exec
	s_and_b64 s[14:15], vcc, exec
	s_or_b64 s[10:11], s[10:11], s[14:15]
; %bb.221:                              ;   in Loop: Header=BB1_41 Depth=3
	s_or_b64 exec, exec, s[12:13]
	s_andn2_b64 s[6:7], s[6:7], exec
	s_and_b64 s[10:11], s[10:11], exec
	s_or_b64 s[6:7], s[6:7], s[10:11]
	s_or_b64 exec, exec, s[8:9]
	s_and_b64 exec, exec, s[6:7]
	s_cbranch_execz .LBB1_40
.LBB1_222:                              ;   in Loop: Header=BB1_41 Depth=3
	flat_atomic_add v[2:3], v97
	s_branch .LBB1_40
.LBB1_223:                              ;   in Loop: Header=BB1_13 Depth=1
	s_or_b64 exec, exec, s[78:79]
; %bb.224:                              ;   in Loop: Header=BB1_13 Depth=1
	s_and_saveexec_b64 s[10:11], s[42:43]
	s_cbranch_execz .LBB1_577
; %bb.225:                              ;   in Loop: Header=BB1_13 Depth=1
	s_mov_b64 s[12:13], 0
	v_mov_b32_e32 v28, v72
	s_branch .LBB1_227
.LBB1_226:                              ;   in Loop: Header=BB1_227 Depth=2
	s_or_b64 exec, exec, s[14:15]
	v_add_u32_e32 v28, 32, v28
	v_cmp_ge_u32_e32 vcc, v28, v41
	s_or_b64 s[12:13], vcc, s[12:13]
	s_andn2_b64 exec, exec, s[12:13]
	s_cbranch_execz .LBB1_577
.LBB1_227:                              ;   Parent Loop BB1_13 Depth=1
                                        ; =>  This Loop Header: Depth=2
                                        ;       Child Loop BB1_336 Depth 3
                                        ;       Child Loop BB1_344 Depth 3
	;; [unrolled: 1-line block ×9, first 2 shown]
                                        ;         Child Loop BB1_437 Depth 4
                                        ;         Child Loop BB1_444 Depth 4
	;; [unrolled: 1-line block ×11, first 2 shown]
	v_mad_u64_u32 v[26:27], s[4:5], v28, 56, v[42:43]
	global_load_dword v0, v[26:27], off offset:8
	s_waitcnt vmcnt(0)
	v_cmp_ne_u32_e32 vcc, -1, v0
	s_and_saveexec_b64 s[14:15], vcc
	s_cbranch_execz .LBB1_226
; %bb.228:                              ;   in Loop: Header=BB1_227 Depth=2
	global_load_dwordx4 v[0:3], v[26:27], off offset:32
	global_load_dwordx4 v[6:9], v[26:27], off offset:16
	s_nop 0
	buffer_store_byte v99, off, s[0:3], 0
	buffer_store_byte v100, off, s[0:3], 0 offset:16
	buffer_store_byte v101, off, s[0:3], 0 offset:32
	;; [unrolled: 1-line block ×3, first 2 shown]
	s_waitcnt vmcnt(0)
	buffer_store_dword v0, off, s[0:3], 0 offset:8
	buffer_store_dword v6, off, s[0:3], 0 offset:4
	;; [unrolled: 1-line block ×8, first 2 shown]
	v_mov_b32_e32 v14, v3
	v_mov_b32_e32 v15, v2
	;; [unrolled: 1-line block ×3, first 2 shown]
	v_cmp_lt_u32_e32 vcc, 1, v0
	v_mov_b32_e32 v5, v0
	s_and_saveexec_b64 s[6:7], vcc
	s_cbranch_execz .LBB1_242
; %bb.229:                              ;   in Loop: Header=BB1_227 Depth=2
	v_cvt_f64_u32_e32 v[12:13], v0
	v_cmp_ngt_f64_e32 vcc, v[76:77], v[12:13]
	v_mov_b32_e32 v5, 2
	s_and_saveexec_b64 s[8:9], vcc
	s_cbranch_execz .LBB1_241
; %bb.230:                              ;   in Loop: Header=BB1_227 Depth=2
	v_cmp_ngt_f64_e32 vcc, v[78:79], v[12:13]
	v_cmp_nle_f64_e64 s[4:5], v[76:77], v[12:13]
	v_cvt_f64_u32_e32 v[10:11], v6
	s_or_b64 s[4:5], vcc, s[4:5]
	v_cmp_ngt_f64_e32 vcc, v[76:77], v[10:11]
	s_or_b64 s[18:19], s[4:5], vcc
	v_mov_b32_e32 v5, 3
	s_and_saveexec_b64 s[16:17], s[18:19]
	s_cbranch_execz .LBB1_240
; %bb.231:                              ;   in Loop: Header=BB1_227 Depth=2
	v_cmp_nle_f64_e32 vcc, v[76:77], v[10:11]
	s_or_b64 s[4:5], s[4:5], vcc
	v_mov_b32_e32 v5, 4
	s_and_saveexec_b64 s[18:19], s[4:5]
	s_cbranch_execz .LBB1_239
; %bb.232:                              ;   in Loop: Header=BB1_227 Depth=2
	v_cmp_nle_f64_e64 s[22:23], v[78:79], v[12:13]
	v_cmp_ngt_f64_e64 s[4:5], v[76:77], v[10:11]
	v_cmp_le_f64_e32 vcc, v[78:79], v[12:13]
	s_or_b64 s[4:5], s[22:23], s[4:5]
	v_mov_b32_e32 v5, 5
	s_and_saveexec_b64 s[20:21], s[4:5]
	s_cbranch_execz .LBB1_238
; %bb.233:                              ;   in Loop: Header=BB1_227 Depth=2
                                        ; implicit-def: $sgpr4
	s_and_saveexec_b64 s[24:25], vcc
; %bb.234:                              ;   in Loop: Header=BB1_227 Depth=2
	v_cmp_nlt_f64_e32 vcc, v[76:77], v[10:11]
	v_cmp_ngt_f64_e64 s[4:5], v[78:79], v[10:11]
	s_or_b64 s[26:27], vcc, s[4:5]
	s_andn2_b64 s[22:23], s[22:23], exec
	s_and_b64 s[26:27], s[26:27], exec
	s_mov_b32 s4, 6
	s_or_b64 s[22:23], s[22:23], s[26:27]
; %bb.235:                              ;   in Loop: Header=BB1_227 Depth=2
	s_or_b64 exec, exec, s[24:25]
	v_mov_b32_e32 v5, s4
	s_and_saveexec_b64 s[4:5], s[22:23]
; %bb.236:                              ;   in Loop: Header=BB1_227 Depth=2
	v_mov_b32_e32 v5, 7
; %bb.237:                              ;   in Loop: Header=BB1_227 Depth=2
	s_or_b64 exec, exec, s[4:5]
.LBB1_238:                              ;   in Loop: Header=BB1_227 Depth=2
	s_or_b64 exec, exec, s[20:21]
.LBB1_239:                              ;   in Loop: Header=BB1_227 Depth=2
	s_or_b64 exec, exec, s[18:19]
.LBB1_240:                              ;   in Loop: Header=BB1_227 Depth=2
	s_or_b64 exec, exec, s[16:17]
.LBB1_241:                              ;   in Loop: Header=BB1_227 Depth=2
	s_or_b64 exec, exec, s[8:9]
.LBB1_242:                              ;   in Loop: Header=BB1_227 Depth=2
	s_or_b64 exec, exec, s[6:7]
	v_cmp_lt_u32_e32 vcc, 1, v1
	buffer_store_dword v5, off, s[0:3], 0 offset:12
	s_and_saveexec_b64 s[6:7], vcc
	s_cbranch_execz .LBB1_256
; %bb.243:                              ;   in Loop: Header=BB1_227 Depth=2
	v_cvt_f64_u32_e32 v[12:13], v1
	v_cmp_ngt_f64_e32 vcc, v[76:77], v[12:13]
	v_mov_b32_e32 v16, 2
	s_and_saveexec_b64 s[8:9], vcc
	s_cbranch_execz .LBB1_255
; %bb.244:                              ;   in Loop: Header=BB1_227 Depth=2
	v_cmp_ngt_f64_e32 vcc, v[78:79], v[12:13]
	v_cmp_nle_f64_e64 s[4:5], v[76:77], v[12:13]
	v_cvt_f64_u32_e32 v[10:11], v7
	s_or_b64 s[4:5], vcc, s[4:5]
	v_cmp_ngt_f64_e32 vcc, v[76:77], v[10:11]
	s_or_b64 s[18:19], s[4:5], vcc
	v_mov_b32_e32 v16, 3
	s_and_saveexec_b64 s[16:17], s[18:19]
	s_cbranch_execz .LBB1_254
; %bb.245:                              ;   in Loop: Header=BB1_227 Depth=2
	v_cmp_nle_f64_e32 vcc, v[76:77], v[10:11]
	s_or_b64 s[4:5], s[4:5], vcc
	v_mov_b32_e32 v16, 4
	s_and_saveexec_b64 s[18:19], s[4:5]
	s_cbranch_execz .LBB1_253
; %bb.246:                              ;   in Loop: Header=BB1_227 Depth=2
	v_cmp_nle_f64_e64 s[22:23], v[78:79], v[12:13]
	v_cmp_ngt_f64_e64 s[4:5], v[76:77], v[10:11]
	v_cmp_le_f64_e32 vcc, v[78:79], v[12:13]
	s_or_b64 s[4:5], s[22:23], s[4:5]
	v_mov_b32_e32 v16, 5
	s_and_saveexec_b64 s[20:21], s[4:5]
	s_cbranch_execz .LBB1_252
; %bb.247:                              ;   in Loop: Header=BB1_227 Depth=2
                                        ; implicit-def: $sgpr4
	s_and_saveexec_b64 s[24:25], vcc
; %bb.248:                              ;   in Loop: Header=BB1_227 Depth=2
	v_cmp_nlt_f64_e32 vcc, v[76:77], v[10:11]
	v_cmp_ngt_f64_e64 s[4:5], v[78:79], v[10:11]
	s_or_b64 s[26:27], vcc, s[4:5]
	s_andn2_b64 s[22:23], s[22:23], exec
	s_and_b64 s[26:27], s[26:27], exec
	s_mov_b32 s4, 6
	s_or_b64 s[22:23], s[22:23], s[26:27]
; %bb.249:                              ;   in Loop: Header=BB1_227 Depth=2
	s_or_b64 exec, exec, s[24:25]
	v_mov_b32_e32 v16, s4
	s_and_saveexec_b64 s[4:5], s[22:23]
; %bb.250:                              ;   in Loop: Header=BB1_227 Depth=2
	v_mov_b32_e32 v16, 7
; %bb.251:                              ;   in Loop: Header=BB1_227 Depth=2
	s_or_b64 exec, exec, s[4:5]
.LBB1_252:                              ;   in Loop: Header=BB1_227 Depth=2
	s_or_b64 exec, exec, s[20:21]
.LBB1_253:                              ;   in Loop: Header=BB1_227 Depth=2
	s_or_b64 exec, exec, s[18:19]
.LBB1_254:                              ;   in Loop: Header=BB1_227 Depth=2
	s_or_b64 exec, exec, s[16:17]
.LBB1_255:                              ;   in Loop: Header=BB1_227 Depth=2
	s_or_b64 exec, exec, s[8:9]
.LBB1_256:                              ;   in Loop: Header=BB1_227 Depth=2
	s_or_b64 exec, exec, s[6:7]
	v_cmp_lt_u32_e32 vcc, 1, v2
	buffer_store_dword v16, off, s[0:3], 0 offset:28
	;; [unrolled: 63-line block ×3, first 2 shown]
	s_and_saveexec_b64 s[6:7], vcc
	s_cbranch_execz .LBB1_284
; %bb.271:                              ;   in Loop: Header=BB1_227 Depth=2
	v_cvt_f64_u32_e32 v[12:13], v3
	v_cmp_ngt_f64_e32 vcc, v[76:77], v[12:13]
	v_mov_b32_e32 v14, 2
	s_and_saveexec_b64 s[8:9], vcc
	s_cbranch_execz .LBB1_283
; %bb.272:                              ;   in Loop: Header=BB1_227 Depth=2
	v_cmp_ngt_f64_e32 vcc, v[78:79], v[12:13]
	v_cmp_nle_f64_e64 s[4:5], v[76:77], v[12:13]
	v_cvt_f64_u32_e32 v[10:11], v9
	s_or_b64 s[4:5], vcc, s[4:5]
	v_cmp_ngt_f64_e32 vcc, v[76:77], v[10:11]
	s_or_b64 s[18:19], s[4:5], vcc
	v_mov_b32_e32 v14, 3
	s_and_saveexec_b64 s[16:17], s[18:19]
	s_cbranch_execz .LBB1_282
; %bb.273:                              ;   in Loop: Header=BB1_227 Depth=2
	v_cmp_nle_f64_e32 vcc, v[76:77], v[10:11]
	s_or_b64 s[4:5], s[4:5], vcc
	v_mov_b32_e32 v14, 4
	s_and_saveexec_b64 s[18:19], s[4:5]
	s_cbranch_execz .LBB1_281
; %bb.274:                              ;   in Loop: Header=BB1_227 Depth=2
	v_cmp_nle_f64_e64 s[22:23], v[78:79], v[12:13]
	v_cmp_ngt_f64_e64 s[4:5], v[76:77], v[10:11]
	v_cmp_le_f64_e32 vcc, v[78:79], v[12:13]
	s_or_b64 s[4:5], s[22:23], s[4:5]
	v_mov_b32_e32 v14, 5
	s_and_saveexec_b64 s[20:21], s[4:5]
	s_cbranch_execz .LBB1_280
; %bb.275:                              ;   in Loop: Header=BB1_227 Depth=2
                                        ; implicit-def: $sgpr4
	s_and_saveexec_b64 s[24:25], vcc
; %bb.276:                              ;   in Loop: Header=BB1_227 Depth=2
	v_cmp_nlt_f64_e32 vcc, v[76:77], v[10:11]
	v_cmp_ngt_f64_e64 s[4:5], v[78:79], v[10:11]
	s_or_b64 s[26:27], vcc, s[4:5]
	s_andn2_b64 s[22:23], s[22:23], exec
	s_and_b64 s[26:27], s[26:27], exec
	s_mov_b32 s4, 6
	s_or_b64 s[22:23], s[22:23], s[26:27]
; %bb.277:                              ;   in Loop: Header=BB1_227 Depth=2
	s_or_b64 exec, exec, s[24:25]
	v_mov_b32_e32 v14, s4
	s_and_saveexec_b64 s[4:5], s[22:23]
; %bb.278:                              ;   in Loop: Header=BB1_227 Depth=2
	v_mov_b32_e32 v14, 7
; %bb.279:                              ;   in Loop: Header=BB1_227 Depth=2
	s_or_b64 exec, exec, s[4:5]
.LBB1_280:                              ;   in Loop: Header=BB1_227 Depth=2
	s_or_b64 exec, exec, s[20:21]
.LBB1_281:                              ;   in Loop: Header=BB1_227 Depth=2
	s_or_b64 exec, exec, s[18:19]
.LBB1_282:                              ;   in Loop: Header=BB1_227 Depth=2
	s_or_b64 exec, exec, s[16:17]
.LBB1_283:                              ;   in Loop: Header=BB1_227 Depth=2
	s_or_b64 exec, exec, s[8:9]
.LBB1_284:                              ;   in Loop: Header=BB1_227 Depth=2
	s_or_b64 exec, exec, s[6:7]
	v_cmp_ne_u32_e32 vcc, v5, v16
	buffer_store_dword v14, off, s[0:3], 0 offset:60
                                        ; implicit-def: $sgpr4_sgpr5
	s_and_saveexec_b64 s[6:7], vcc
	s_xor_b64 s[6:7], exec, s[6:7]
	s_cbranch_execnz .LBB1_355
; %bb.285:                              ;   in Loop: Header=BB1_227 Depth=2
	s_andn2_saveexec_b64 s[6:7], s[6:7]
	s_cbranch_execnz .LBB1_356
.LBB1_286:                              ;   in Loop: Header=BB1_227 Depth=2
	s_or_b64 exec, exec, s[6:7]
	s_and_saveexec_b64 s[6:7], s[4:5]
	s_cbranch_execz .LBB1_288
.LBB1_287:                              ;   in Loop: Header=BB1_227 Depth=2
	buffer_load_dword v0, off, s[0:3], 0 offset:8
	buffer_load_dword v1, off, s[0:3], 0 offset:12
	buffer_load_dword v6, off, s[0:3], 0
	buffer_load_dword v7, off, s[0:3], 0 offset:4
	buffer_load_dword v10, v91, s[0:3], 0 offen
	buffer_load_dword v11, v91, s[0:3], 0 offen offset:4
	buffer_load_dword v12, v91, s[0:3], 0 offen offset:8
	;; [unrolled: 1-line block ×3, first 2 shown]
	s_waitcnt vmcnt(0)
	ds_write2_b32 v90, v0, v1 offset0:2 offset1:3
	ds_write2_b32 v90, v6, v7 offset1:1
	buffer_store_dword v10, off, s[0:3], 0
	buffer_store_dword v11, off, s[0:3], 0 offset:4
	buffer_store_dword v12, off, s[0:3], 0 offset:8
	;; [unrolled: 1-line block ×3, first 2 shown]
	buffer_store_dword v6, v91, s[0:3], 0 offen
	buffer_store_dword v7, v91, s[0:3], 0 offen offset:4
	buffer_store_dword v0, v91, s[0:3], 0 offen offset:8
	;; [unrolled: 1-line block ×3, first 2 shown]
.LBB1_288:                              ;   in Loop: Header=BB1_227 Depth=2
	s_or_b64 exec, exec, s[6:7]
	v_cmp_ne_u32_e32 vcc, v5, v15
                                        ; implicit-def: $sgpr4_sgpr5
	s_and_saveexec_b64 s[6:7], vcc
	s_xor_b64 s[6:7], exec, s[6:7]
	s_cbranch_execnz .LBB1_361
; %bb.289:                              ;   in Loop: Header=BB1_227 Depth=2
	s_andn2_saveexec_b64 s[6:7], s[6:7]
	s_cbranch_execnz .LBB1_362
.LBB1_290:                              ;   in Loop: Header=BB1_227 Depth=2
	s_or_b64 exec, exec, s[6:7]
	s_and_saveexec_b64 s[6:7], s[4:5]
	s_cbranch_execz .LBB1_292
.LBB1_291:                              ;   in Loop: Header=BB1_227 Depth=2
	buffer_load_dword v0, off, s[0:3], 0 offset:8
	buffer_load_dword v1, off, s[0:3], 0 offset:12
	buffer_load_dword v2, off, s[0:3], 0
	buffer_load_dword v6, off, s[0:3], 0 offset:4
	buffer_load_dword v7, v92, s[0:3], 0 offen
	buffer_load_dword v8, v92, s[0:3], 0 offen offset:4
	buffer_load_dword v10, v92, s[0:3], 0 offen offset:8
	;; [unrolled: 1-line block ×3, first 2 shown]
	s_waitcnt vmcnt(0)
	ds_write2_b32 v90, v0, v1 offset0:2 offset1:3
	ds_write2_b32 v90, v2, v6 offset1:1
	buffer_store_dword v7, off, s[0:3], 0
	buffer_store_dword v8, off, s[0:3], 0 offset:4
	buffer_store_dword v10, off, s[0:3], 0 offset:8
	;; [unrolled: 1-line block ×3, first 2 shown]
	buffer_store_dword v2, v92, s[0:3], 0 offen
	buffer_store_dword v6, v92, s[0:3], 0 offen offset:4
	buffer_store_dword v0, v92, s[0:3], 0 offen offset:8
	;; [unrolled: 1-line block ×3, first 2 shown]
.LBB1_292:                              ;   in Loop: Header=BB1_227 Depth=2
	s_or_b64 exec, exec, s[6:7]
	v_cmp_ne_u32_e32 vcc, v5, v14
                                        ; implicit-def: $sgpr4_sgpr5
	s_and_saveexec_b64 s[6:7], vcc
	s_xor_b64 s[6:7], exec, s[6:7]
	s_cbranch_execnz .LBB1_367
; %bb.293:                              ;   in Loop: Header=BB1_227 Depth=2
	s_andn2_saveexec_b64 s[6:7], s[6:7]
	s_cbranch_execnz .LBB1_368
.LBB1_294:                              ;   in Loop: Header=BB1_227 Depth=2
	s_or_b64 exec, exec, s[6:7]
	s_and_saveexec_b64 s[6:7], s[4:5]
	s_cbranch_execz .LBB1_296
.LBB1_295:                              ;   in Loop: Header=BB1_227 Depth=2
	buffer_load_dword v0, off, s[0:3], 0 offset:8
	buffer_load_dword v1, off, s[0:3], 0 offset:12
	buffer_load_dword v2, off, s[0:3], 0
	buffer_load_dword v3, off, s[0:3], 0 offset:4
	buffer_load_dword v6, v93, s[0:3], 0 offen
	buffer_load_dword v7, v93, s[0:3], 0 offen offset:4
	buffer_load_dword v8, v93, s[0:3], 0 offen offset:8
	;; [unrolled: 1-line block ×3, first 2 shown]
	s_waitcnt vmcnt(0)
	ds_write2_b32 v90, v0, v1 offset0:2 offset1:3
	ds_write2_b32 v90, v2, v3 offset1:1
	buffer_store_dword v6, off, s[0:3], 0
	buffer_store_dword v7, off, s[0:3], 0 offset:4
	buffer_store_dword v8, off, s[0:3], 0 offset:8
	;; [unrolled: 1-line block ×3, first 2 shown]
	buffer_store_dword v2, v93, s[0:3], 0 offen
	buffer_store_dword v3, v93, s[0:3], 0 offen offset:4
	buffer_store_dword v0, v93, s[0:3], 0 offen offset:8
	;; [unrolled: 1-line block ×3, first 2 shown]
.LBB1_296:                              ;   in Loop: Header=BB1_227 Depth=2
	s_or_b64 exec, exec, s[6:7]
	buffer_load_dword v0, off, s[0:3], 0 offset:28
                                        ; implicit-def: $sgpr4_sgpr5
	s_waitcnt vmcnt(0)
	v_cmp_ne_u32_e32 vcc, v0, v5
	s_and_saveexec_b64 s[6:7], vcc
	s_xor_b64 s[6:7], exec, s[6:7]
	s_cbranch_execnz .LBB1_373
; %bb.297:                              ;   in Loop: Header=BB1_227 Depth=2
	s_andn2_saveexec_b64 s[6:7], s[6:7]
	s_cbranch_execnz .LBB1_374
.LBB1_298:                              ;   in Loop: Header=BB1_227 Depth=2
	s_or_b64 exec, exec, s[6:7]
	s_and_saveexec_b64 s[6:7], s[4:5]
	s_cbranch_execz .LBB1_300
.LBB1_299:                              ;   in Loop: Header=BB1_227 Depth=2
	buffer_load_dword v1, v91, s[0:3], 0 offen offset:8
	buffer_load_dword v0, off, s[0:3], 0 offset:12
	buffer_load_dword v2, v91, s[0:3], 0 offen
	buffer_load_dword v3, v91, s[0:3], 0 offen offset:12
	buffer_load_dword v5, v91, s[0:3], 0 offen offset:4
	buffer_load_dword v6, off, s[0:3], 0
	buffer_load_dword v7, off, s[0:3], 0 offset:4
	buffer_load_dword v8, off, s[0:3], 0 offset:8
	s_waitcnt vmcnt(0)
	buffer_store_dword v0, v91, s[0:3], 0 offen offset:12
	buffer_load_dword v0, off, s[0:3], 0 offset:28
	ds_write2_b32 v90, v1, v3 offset0:2 offset1:3
	ds_write2_b32 v90, v2, v5 offset1:1
	buffer_store_dword v6, v91, s[0:3], 0 offen
	buffer_store_dword v7, v91, s[0:3], 0 offen offset:4
	buffer_store_dword v8, v91, s[0:3], 0 offen offset:8
	buffer_store_dword v2, off, s[0:3], 0
	buffer_store_dword v5, off, s[0:3], 0 offset:4
	buffer_store_dword v1, off, s[0:3], 0 offset:8
	;; [unrolled: 1-line block ×3, first 2 shown]
.LBB1_300:                              ;   in Loop: Header=BB1_227 Depth=2
	s_or_b64 exec, exec, s[6:7]
	buffer_load_dword v1, off, s[0:3], 0 offset:44
                                        ; implicit-def: $sgpr4_sgpr5
	s_waitcnt vmcnt(0)
	v_cmp_ne_u32_e32 vcc, v0, v1
	s_and_saveexec_b64 s[6:7], vcc
	s_xor_b64 s[6:7], exec, s[6:7]
	s_cbranch_execnz .LBB1_379
; %bb.301:                              ;   in Loop: Header=BB1_227 Depth=2
	s_andn2_saveexec_b64 s[6:7], s[6:7]
	s_cbranch_execnz .LBB1_380
.LBB1_302:                              ;   in Loop: Header=BB1_227 Depth=2
	s_or_b64 exec, exec, s[6:7]
	s_and_saveexec_b64 s[6:7], s[4:5]
	s_cbranch_execz .LBB1_304
.LBB1_303:                              ;   in Loop: Header=BB1_227 Depth=2
	buffer_load_dword v1, v91, s[0:3], 0 offen offset:4
	buffer_load_dword v2, v91, s[0:3], 0 offen offset:8
	;; [unrolled: 1-line block ×4, first 2 shown]
	buffer_load_dword v5, v91, s[0:3], 0 offen
	buffer_load_dword v6, v92, s[0:3], 0 offen
	buffer_load_dword v7, v92, s[0:3], 0 offen offset:4
	buffer_load_dword v8, v92, s[0:3], 0 offen offset:8
	s_waitcnt vmcnt(0)
	buffer_store_dword v0, v91, s[0:3], 0 offen offset:12
	buffer_load_dword v0, off, s[0:3], 0 offset:28
	ds_write2_b32 v90, v2, v3 offset0:2 offset1:3
	ds_write2_b32 v90, v5, v1 offset1:1
	buffer_store_dword v6, v91, s[0:3], 0 offen
	buffer_store_dword v7, v91, s[0:3], 0 offen offset:4
	buffer_store_dword v8, v91, s[0:3], 0 offen offset:8
	buffer_store_dword v5, v92, s[0:3], 0 offen
	buffer_store_dword v1, v92, s[0:3], 0 offen offset:4
	buffer_store_dword v2, v92, s[0:3], 0 offen offset:8
	;; [unrolled: 1-line block ×3, first 2 shown]
.LBB1_304:                              ;   in Loop: Header=BB1_227 Depth=2
	s_or_b64 exec, exec, s[6:7]
	buffer_load_dword v1, off, s[0:3], 0 offset:60
                                        ; implicit-def: $sgpr4_sgpr5
	s_waitcnt vmcnt(0)
	v_cmp_ne_u32_e32 vcc, v0, v1
	s_and_saveexec_b64 s[6:7], vcc
	s_xor_b64 s[6:7], exec, s[6:7]
	s_cbranch_execnz .LBB1_385
; %bb.305:                              ;   in Loop: Header=BB1_227 Depth=2
	s_andn2_saveexec_b64 s[6:7], s[6:7]
	s_cbranch_execnz .LBB1_386
.LBB1_306:                              ;   in Loop: Header=BB1_227 Depth=2
	s_or_b64 exec, exec, s[6:7]
	s_and_saveexec_b64 s[6:7], s[4:5]
	s_cbranch_execz .LBB1_308
.LBB1_307:                              ;   in Loop: Header=BB1_227 Depth=2
	buffer_load_dword v0, v91, s[0:3], 0 offen offset:8
	buffer_load_dword v1, v91, s[0:3], 0 offen offset:12
	buffer_load_dword v2, v91, s[0:3], 0 offen
	buffer_load_dword v3, v91, s[0:3], 0 offen offset:4
	buffer_load_dword v5, v93, s[0:3], 0 offen
	buffer_load_dword v6, v93, s[0:3], 0 offen offset:4
	buffer_load_dword v7, v93, s[0:3], 0 offen offset:8
	;; [unrolled: 1-line block ×3, first 2 shown]
	s_waitcnt vmcnt(0)
	ds_write2_b32 v90, v0, v1 offset0:2 offset1:3
	ds_write2_b32 v90, v2, v3 offset1:1
	buffer_store_dword v5, v91, s[0:3], 0 offen
	buffer_store_dword v6, v91, s[0:3], 0 offen offset:4
	buffer_store_dword v7, v91, s[0:3], 0 offen offset:8
	;; [unrolled: 1-line block ×3, first 2 shown]
	buffer_store_dword v2, v93, s[0:3], 0 offen
	buffer_store_dword v3, v93, s[0:3], 0 offen offset:4
	buffer_store_dword v0, v93, s[0:3], 0 offen offset:8
	;; [unrolled: 1-line block ×3, first 2 shown]
.LBB1_308:                              ;   in Loop: Header=BB1_227 Depth=2
	s_or_b64 exec, exec, s[6:7]
	buffer_load_dword v0, off, s[0:3], 0 offset:12
	buffer_load_dword v1, off, s[0:3], 0 offset:44
                                        ; implicit-def: $sgpr4_sgpr5
	s_waitcnt vmcnt(0)
	v_cmp_ne_u32_e32 vcc, v1, v0
	s_and_saveexec_b64 s[6:7], vcc
	s_xor_b64 s[6:7], exec, s[6:7]
	s_cbranch_execnz .LBB1_391
; %bb.309:                              ;   in Loop: Header=BB1_227 Depth=2
	s_andn2_saveexec_b64 s[6:7], s[6:7]
	s_cbranch_execnz .LBB1_392
.LBB1_310:                              ;   in Loop: Header=BB1_227 Depth=2
	s_or_b64 exec, exec, s[6:7]
	s_and_saveexec_b64 s[6:7], s[4:5]
	s_cbranch_execz .LBB1_312
.LBB1_311:                              ;   in Loop: Header=BB1_227 Depth=2
	buffer_load_dword v0, v92, s[0:3], 0 offen offset:8
	buffer_load_dword v1, off, s[0:3], 0 offset:12
	buffer_load_dword v2, v92, s[0:3], 0 offen
	buffer_load_dword v3, v92, s[0:3], 0 offen offset:12
	buffer_load_dword v5, v92, s[0:3], 0 offen offset:4
	buffer_load_dword v6, off, s[0:3], 0
	buffer_load_dword v7, off, s[0:3], 0 offset:4
	buffer_load_dword v8, off, s[0:3], 0 offset:8
	s_waitcnt vmcnt(0)
	buffer_store_dword v1, v92, s[0:3], 0 offen offset:12
	buffer_load_dword v1, off, s[0:3], 0 offset:44
	ds_write2_b32 v90, v0, v3 offset0:2 offset1:3
	ds_write2_b32 v90, v2, v5 offset1:1
	buffer_store_dword v6, v92, s[0:3], 0 offen
	buffer_store_dword v7, v92, s[0:3], 0 offen offset:4
	buffer_store_dword v8, v92, s[0:3], 0 offen offset:8
	buffer_store_dword v2, off, s[0:3], 0
	buffer_store_dword v5, off, s[0:3], 0 offset:4
	buffer_store_dword v0, off, s[0:3], 0 offset:8
	;; [unrolled: 1-line block ×3, first 2 shown]
.LBB1_312:                              ;   in Loop: Header=BB1_227 Depth=2
	s_or_b64 exec, exec, s[6:7]
	buffer_load_dword v0, off, s[0:3], 0 offset:28
                                        ; implicit-def: $sgpr4_sgpr5
	s_waitcnt vmcnt(0)
	v_cmp_ne_u32_e32 vcc, v1, v0
	s_and_saveexec_b64 s[6:7], vcc
	s_xor_b64 s[6:7], exec, s[6:7]
	s_cbranch_execnz .LBB1_397
; %bb.313:                              ;   in Loop: Header=BB1_227 Depth=2
	s_andn2_saveexec_b64 s[6:7], s[6:7]
	s_cbranch_execnz .LBB1_398
.LBB1_314:                              ;   in Loop: Header=BB1_227 Depth=2
	s_or_b64 exec, exec, s[6:7]
	s_and_saveexec_b64 s[6:7], s[4:5]
	s_cbranch_execz .LBB1_316
.LBB1_315:                              ;   in Loop: Header=BB1_227 Depth=2
	buffer_load_dword v0, v91, s[0:3], 0 offen offset:12
	buffer_load_dword v2, v92, s[0:3], 0 offen offset:8
	;; [unrolled: 1-line block ×3, first 2 shown]
	buffer_load_dword v5, v92, s[0:3], 0 offen
	buffer_load_dword v6, v92, s[0:3], 0 offen offset:4
	buffer_load_dword v7, v91, s[0:3], 0 offen
	buffer_load_dword v8, v91, s[0:3], 0 offen offset:4
	buffer_load_dword v9, v91, s[0:3], 0 offen offset:8
	s_waitcnt vmcnt(0)
	buffer_store_dword v0, v92, s[0:3], 0 offen offset:12
	buffer_load_dword v1, off, s[0:3], 0 offset:44
	ds_write2_b32 v90, v2, v3 offset0:2 offset1:3
	ds_write2_b32 v90, v5, v6 offset1:1
	buffer_store_dword v7, v92, s[0:3], 0 offen
	buffer_store_dword v8, v92, s[0:3], 0 offen offset:4
	buffer_store_dword v9, v92, s[0:3], 0 offen offset:8
	buffer_store_dword v5, v91, s[0:3], 0 offen
	buffer_store_dword v6, v91, s[0:3], 0 offen offset:4
	buffer_store_dword v2, v91, s[0:3], 0 offen offset:8
	;; [unrolled: 1-line block ×3, first 2 shown]
.LBB1_316:                              ;   in Loop: Header=BB1_227 Depth=2
	s_or_b64 exec, exec, s[6:7]
	buffer_load_dword v0, off, s[0:3], 0 offset:60
                                        ; implicit-def: $sgpr4_sgpr5
	s_waitcnt vmcnt(0)
	v_cmp_ne_u32_e32 vcc, v1, v0
	s_and_saveexec_b64 s[6:7], vcc
	s_xor_b64 s[6:7], exec, s[6:7]
	s_cbranch_execnz .LBB1_403
; %bb.317:                              ;   in Loop: Header=BB1_227 Depth=2
	s_andn2_saveexec_b64 s[6:7], s[6:7]
	s_cbranch_execnz .LBB1_404
.LBB1_318:                              ;   in Loop: Header=BB1_227 Depth=2
	s_or_b64 exec, exec, s[6:7]
	s_and_saveexec_b64 s[6:7], s[4:5]
	s_cbranch_execz .LBB1_320
.LBB1_319:                              ;   in Loop: Header=BB1_227 Depth=2
	buffer_load_dword v1, v92, s[0:3], 0 offen offset:12
	buffer_load_dword v2, v92, s[0:3], 0 offen offset:8
	buffer_load_dword v3, v92, s[0:3], 0 offen
	buffer_load_dword v5, v92, s[0:3], 0 offen offset:4
	buffer_load_dword v6, v93, s[0:3], 0 offen
	buffer_load_dword v7, v93, s[0:3], 0 offen offset:4
	buffer_load_dword v8, v93, s[0:3], 0 offen offset:8
	buffer_load_dword v9, v93, s[0:3], 0 offen offset:12
	s_waitcnt vmcnt(0)
	buffer_store_dword v1, v93, s[0:3], 0 offen offset:12
	buffer_load_dword v0, off, s[0:3], 0 offset:60
	ds_write2_b32 v90, v2, v1 offset0:2 offset1:3
	ds_write2_b32 v90, v3, v5 offset1:1
	buffer_store_dword v6, v92, s[0:3], 0 offen
	buffer_store_dword v7, v92, s[0:3], 0 offen offset:4
	buffer_store_dword v8, v92, s[0:3], 0 offen offset:8
	;; [unrolled: 1-line block ×3, first 2 shown]
	buffer_store_dword v3, v93, s[0:3], 0 offen
	buffer_store_dword v5, v93, s[0:3], 0 offen offset:4
	buffer_store_dword v2, v93, s[0:3], 0 offen offset:8
.LBB1_320:                              ;   in Loop: Header=BB1_227 Depth=2
	s_or_b64 exec, exec, s[6:7]
	buffer_load_dword v1, off, s[0:3], 0 offset:12
                                        ; implicit-def: $sgpr4_sgpr5
	s_waitcnt vmcnt(0)
	v_cmp_ne_u32_e32 vcc, v0, v1
	s_and_saveexec_b64 s[6:7], vcc
	s_xor_b64 s[6:7], exec, s[6:7]
	s_cbranch_execnz .LBB1_409
; %bb.321:                              ;   in Loop: Header=BB1_227 Depth=2
	s_andn2_saveexec_b64 s[6:7], s[6:7]
	s_cbranch_execnz .LBB1_410
.LBB1_322:                              ;   in Loop: Header=BB1_227 Depth=2
	s_or_b64 exec, exec, s[6:7]
	s_and_saveexec_b64 s[6:7], s[4:5]
	s_cbranch_execz .LBB1_324
.LBB1_323:                              ;   in Loop: Header=BB1_227 Depth=2
	buffer_load_dword v1, v93, s[0:3], 0 offen offset:8
	buffer_load_dword v0, off, s[0:3], 0 offset:12
	buffer_load_dword v2, v93, s[0:3], 0 offen
	buffer_load_dword v3, v93, s[0:3], 0 offen offset:12
	buffer_load_dword v5, v93, s[0:3], 0 offen offset:4
	buffer_load_dword v6, off, s[0:3], 0
	buffer_load_dword v7, off, s[0:3], 0 offset:4
	buffer_load_dword v8, off, s[0:3], 0 offset:8
	s_waitcnt vmcnt(0)
	buffer_store_dword v0, v93, s[0:3], 0 offen offset:12
	buffer_load_dword v0, off, s[0:3], 0 offset:60
	ds_write2_b32 v90, v1, v3 offset0:2 offset1:3
	ds_write2_b32 v90, v2, v5 offset1:1
	buffer_store_dword v6, v93, s[0:3], 0 offen
	buffer_store_dword v7, v93, s[0:3], 0 offen offset:4
	buffer_store_dword v8, v93, s[0:3], 0 offen offset:8
	buffer_store_dword v2, off, s[0:3], 0
	buffer_store_dword v5, off, s[0:3], 0 offset:4
	buffer_store_dword v1, off, s[0:3], 0 offset:8
	;; [unrolled: 1-line block ×3, first 2 shown]
.LBB1_324:                              ;   in Loop: Header=BB1_227 Depth=2
	s_or_b64 exec, exec, s[6:7]
	buffer_load_dword v1, off, s[0:3], 0 offset:28
                                        ; implicit-def: $sgpr4_sgpr5
	s_waitcnt vmcnt(0)
	v_cmp_ne_u32_e32 vcc, v0, v1
	s_and_saveexec_b64 s[6:7], vcc
	s_xor_b64 s[6:7], exec, s[6:7]
	s_cbranch_execnz .LBB1_415
; %bb.325:                              ;   in Loop: Header=BB1_227 Depth=2
	s_andn2_saveexec_b64 s[6:7], s[6:7]
	s_cbranch_execnz .LBB1_416
.LBB1_326:                              ;   in Loop: Header=BB1_227 Depth=2
	s_or_b64 exec, exec, s[6:7]
	s_and_saveexec_b64 s[6:7], s[4:5]
	s_cbranch_execz .LBB1_328
.LBB1_327:                              ;   in Loop: Header=BB1_227 Depth=2
	buffer_load_dword v0, v91, s[0:3], 0 offen offset:12
	buffer_load_dword v1, v93, s[0:3], 0 offen offset:8
	;; [unrolled: 1-line block ×3, first 2 shown]
	buffer_load_dword v3, v93, s[0:3], 0 offen
	buffer_load_dword v5, v93, s[0:3], 0 offen offset:4
	buffer_load_dword v6, v91, s[0:3], 0 offen
	buffer_load_dword v7, v91, s[0:3], 0 offen offset:4
	buffer_load_dword v8, v91, s[0:3], 0 offen offset:8
	s_waitcnt vmcnt(0)
	buffer_store_dword v0, v93, s[0:3], 0 offen offset:12
	buffer_load_dword v0, off, s[0:3], 0 offset:60
	ds_write2_b32 v90, v1, v2 offset0:2 offset1:3
	ds_write2_b32 v90, v3, v5 offset1:1
	buffer_store_dword v6, v93, s[0:3], 0 offen
	buffer_store_dword v7, v93, s[0:3], 0 offen offset:4
	buffer_store_dword v8, v93, s[0:3], 0 offen offset:8
	buffer_store_dword v3, v91, s[0:3], 0 offen
	buffer_store_dword v5, v91, s[0:3], 0 offen offset:4
	buffer_store_dword v1, v91, s[0:3], 0 offen offset:8
	;; [unrolled: 1-line block ×3, first 2 shown]
.LBB1_328:                              ;   in Loop: Header=BB1_227 Depth=2
	s_or_b64 exec, exec, s[6:7]
	buffer_load_dword v1, off, s[0:3], 0 offset:44
                                        ; implicit-def: $sgpr4_sgpr5
	s_waitcnt vmcnt(0)
	v_cmp_ne_u32_e32 vcc, v0, v1
	s_and_saveexec_b64 s[6:7], vcc
	s_xor_b64 s[6:7], exec, s[6:7]
	s_cbranch_execnz .LBB1_421
; %bb.329:                              ;   in Loop: Header=BB1_227 Depth=2
	s_andn2_saveexec_b64 s[6:7], s[6:7]
	s_cbranch_execnz .LBB1_422
.LBB1_330:                              ;   in Loop: Header=BB1_227 Depth=2
	s_or_b64 exec, exec, s[6:7]
	s_and_saveexec_b64 s[6:7], s[4:5]
	s_cbranch_execz .LBB1_332
.LBB1_331:                              ;   in Loop: Header=BB1_227 Depth=2
	buffer_load_dword v0, v93, s[0:3], 0 offen offset:8
	buffer_load_dword v1, v93, s[0:3], 0 offen offset:12
	buffer_load_dword v2, v93, s[0:3], 0 offen
	buffer_load_dword v3, v93, s[0:3], 0 offen offset:4
	buffer_load_dword v5, v92, s[0:3], 0 offen
	buffer_load_dword v6, v92, s[0:3], 0 offen offset:4
	buffer_load_dword v7, v92, s[0:3], 0 offen offset:8
	;; [unrolled: 1-line block ×3, first 2 shown]
	s_waitcnt vmcnt(0)
	ds_write2_b32 v90, v0, v1 offset0:2 offset1:3
	ds_write2_b32 v90, v2, v3 offset1:1
	buffer_store_dword v5, v93, s[0:3], 0 offen
	buffer_store_dword v6, v93, s[0:3], 0 offen offset:4
	buffer_store_dword v7, v93, s[0:3], 0 offen offset:8
	;; [unrolled: 1-line block ×3, first 2 shown]
	buffer_store_dword v2, v92, s[0:3], 0 offen
	buffer_store_dword v3, v92, s[0:3], 0 offen offset:4
	buffer_store_dword v0, v92, s[0:3], 0 offen offset:8
	buffer_store_dword v1, v92, s[0:3], 0 offen offset:12
.LBB1_332:                              ;   in Loop: Header=BB1_227 Depth=2
	s_or_b64 exec, exec, s[6:7]
	buffer_load_dword v30, off, s[0:3], 0 offset:12
	buffer_load_dword v29, off, s[0:3], 0 offset:28
	s_waitcnt vmcnt(0)
	v_cmp_lt_i32_e32 vcc, v30, v29
	s_and_saveexec_b64 s[6:7], vcc
	s_cbranch_execz .LBB1_543
; %bb.333:                              ;   in Loop: Header=BB1_227 Depth=2
	s_load_dwordx2 s[8:9], s[64:65], 0x50
	v_readfirstlane_b32 s4, v98
	v_cmp_eq_u32_e64 s[4:5], s4, v98
	v_pk_mov_b32 v[6:7], 0, 0
	s_and_saveexec_b64 s[16:17], s[4:5]
	s_cbranch_execz .LBB1_339
; %bb.334:                              ;   in Loop: Header=BB1_227 Depth=2
	s_waitcnt lgkmcnt(0)
	global_load_dwordx2 v[2:3], v47, s[8:9] offset:24 glc
	s_waitcnt vmcnt(0)
	buffer_invl2
	buffer_wbinvl1_vol
	global_load_dwordx2 v[0:1], v47, s[8:9] offset:40
	global_load_dwordx2 v[6:7], v47, s[8:9]
	s_waitcnt vmcnt(1)
	v_and_b32_e32 v0, v0, v2
	v_and_b32_e32 v1, v1, v3
	v_mul_lo_u32 v1, v1, 24
	v_mul_hi_u32 v5, v0, 24
	v_mul_lo_u32 v0, v0, 24
	v_add_u32_e32 v1, v5, v1
	s_waitcnt vmcnt(0)
	v_add_co_u32_e32 v0, vcc, v6, v0
	v_addc_co_u32_e32 v1, vcc, v7, v1, vcc
	global_load_dwordx2 v[0:1], v[0:1], off glc
	s_waitcnt vmcnt(0)
	global_atomic_cmpswap_x2 v[6:7], v47, v[0:3], s[8:9] offset:24 glc
	s_waitcnt vmcnt(0)
	buffer_invl2
	buffer_wbinvl1_vol
	v_cmp_ne_u64_e32 vcc, v[6:7], v[2:3]
	s_and_saveexec_b64 s[18:19], vcc
	s_cbranch_execz .LBB1_338
; %bb.335:                              ;   in Loop: Header=BB1_227 Depth=2
	s_mov_b64 s[20:21], 0
.LBB1_336:                              ;   Parent Loop BB1_13 Depth=1
                                        ;     Parent Loop BB1_227 Depth=2
                                        ; =>    This Inner Loop Header: Depth=3
	s_sleep 1
	global_load_dwordx2 v[0:1], v47, s[8:9] offset:40
	global_load_dwordx2 v[8:9], v47, s[8:9]
	v_pk_mov_b32 v[2:3], v[6:7], v[6:7] op_sel:[0,1]
	s_waitcnt vmcnt(1)
	v_and_b32_e32 v0, v0, v2
	v_and_b32_e32 v5, v1, v3
	s_waitcnt vmcnt(0)
	v_mad_u64_u32 v[0:1], s[22:23], v0, 24, v[8:9]
	v_mov_b32_e32 v6, v1
	v_mad_u64_u32 v[6:7], s[22:23], v5, 24, v[6:7]
	v_mov_b32_e32 v1, v6
	global_load_dwordx2 v[0:1], v[0:1], off glc
	s_waitcnt vmcnt(0)
	global_atomic_cmpswap_x2 v[6:7], v47, v[0:3], s[8:9] offset:24 glc
	s_waitcnt vmcnt(0)
	buffer_invl2
	buffer_wbinvl1_vol
	v_cmp_eq_u64_e32 vcc, v[6:7], v[2:3]
	s_or_b64 s[20:21], vcc, s[20:21]
	s_andn2_b64 exec, exec, s[20:21]
	s_cbranch_execnz .LBB1_336
; %bb.337:                              ;   in Loop: Header=BB1_227 Depth=2
	s_or_b64 exec, exec, s[20:21]
.LBB1_338:                              ;   in Loop: Header=BB1_227 Depth=2
	s_or_b64 exec, exec, s[18:19]
.LBB1_339:                              ;   in Loop: Header=BB1_227 Depth=2
	s_or_b64 exec, exec, s[16:17]
	s_waitcnt lgkmcnt(0)
	global_load_dwordx2 v[8:9], v47, s[8:9] offset:40
	global_load_dwordx4 v[0:3], v47, s[8:9]
	v_readfirstlane_b32 s16, v6
	v_readfirstlane_b32 s17, v7
	s_mov_b64 s[18:19], exec
	s_waitcnt vmcnt(1)
	v_readfirstlane_b32 s20, v8
	v_readfirstlane_b32 s21, v9
	s_and_b64 s[20:21], s[16:17], s[20:21]
	s_mul_i32 s22, s21, 24
	s_mul_hi_u32 s23, s20, 24
	s_mul_i32 s24, s20, 24
	s_add_i32 s22, s23, s22
	v_mov_b32_e32 v5, s22
	s_waitcnt vmcnt(0)
	v_add_co_u32_e32 v6, vcc, s24, v0
	v_addc_co_u32_e32 v7, vcc, v1, v5, vcc
	s_and_saveexec_b64 s[22:23], s[4:5]
	s_cbranch_execz .LBB1_341
; %bb.340:                              ;   in Loop: Header=BB1_227 Depth=2
	v_pk_mov_b32 v[56:57], s[18:19], s[18:19] op_sel:[0,1]
	global_store_dwordx4 v[6:7], v[56:59], off offset:8
.LBB1_341:                              ;   in Loop: Header=BB1_227 Depth=2
	s_or_b64 exec, exec, s[22:23]
	s_lshl_b64 s[18:19], s[20:21], 12
	v_mov_b32_e32 v5, s19
	v_add_co_u32_e32 v8, vcc, s18, v2
	s_mov_b32 s61, s60
	v_addc_co_u32_e32 v5, vcc, v3, v5, vcc
	s_mov_b32 s62, s60
	s_mov_b32 s63, s60
	v_pk_mov_b32 v[10:11], s[60:61], s[60:61] op_sel:[0,1]
	v_lshlrev_b32_e32 v31, 6, v98
	v_mov_b32_e32 v45, v47
	v_mov_b32_e32 v46, v47
	v_readfirstlane_b32 s18, v8
	v_readfirstlane_b32 s19, v5
	v_pk_mov_b32 v[12:13], s[62:63], s[62:63] op_sel:[0,1]
	s_nop 3
	global_store_dwordx4 v31, v[44:47], s[18:19]
	global_store_dwordx4 v31, v[10:13], s[18:19] offset:16
	global_store_dwordx4 v31, v[10:13], s[18:19] offset:32
	;; [unrolled: 1-line block ×3, first 2 shown]
	s_and_saveexec_b64 s[18:19], s[4:5]
	s_cbranch_execz .LBB1_349
; %bb.342:                              ;   in Loop: Header=BB1_227 Depth=2
	global_load_dwordx2 v[14:15], v47, s[8:9] offset:32 glc
	global_load_dwordx2 v[2:3], v47, s[8:9] offset:40
	v_mov_b32_e32 v12, s16
	v_mov_b32_e32 v13, s17
	s_waitcnt vmcnt(0)
	v_and_b32_e32 v2, s16, v2
	v_and_b32_e32 v3, s17, v3
	v_mul_lo_u32 v3, v3, 24
	v_mul_hi_u32 v9, v2, 24
	v_mul_lo_u32 v2, v2, 24
	v_add_u32_e32 v3, v9, v3
	v_add_co_u32_e32 v10, vcc, v0, v2
	v_addc_co_u32_e32 v11, vcc, v1, v3, vcc
	global_store_dwordx2 v[10:11], v[14:15], off
	buffer_wbl2
	s_waitcnt vmcnt(0)
	global_atomic_cmpswap_x2 v[2:3], v47, v[12:15], s[8:9] offset:32 glc
	s_waitcnt vmcnt(0)
	v_cmp_ne_u64_e32 vcc, v[2:3], v[14:15]
	s_and_saveexec_b64 s[20:21], vcc
	s_cbranch_execz .LBB1_345
; %bb.343:                              ;   in Loop: Header=BB1_227 Depth=2
	s_mov_b64 s[22:23], 0
.LBB1_344:                              ;   Parent Loop BB1_13 Depth=1
                                        ;     Parent Loop BB1_227 Depth=2
                                        ; =>    This Inner Loop Header: Depth=3
	s_sleep 1
	global_store_dwordx2 v[10:11], v[2:3], off
	v_mov_b32_e32 v0, s16
	v_mov_b32_e32 v1, s17
	buffer_wbl2
	s_waitcnt vmcnt(0)
	global_atomic_cmpswap_x2 v[0:1], v47, v[0:3], s[8:9] offset:32 glc
	s_waitcnt vmcnt(0)
	v_cmp_eq_u64_e32 vcc, v[0:1], v[2:3]
	s_or_b64 s[22:23], vcc, s[22:23]
	v_pk_mov_b32 v[2:3], v[0:1], v[0:1] op_sel:[0,1]
	s_andn2_b64 exec, exec, s[22:23]
	s_cbranch_execnz .LBB1_344
.LBB1_345:                              ;   in Loop: Header=BB1_227 Depth=2
	s_or_b64 exec, exec, s[20:21]
	global_load_dwordx2 v[0:1], v47, s[8:9] offset:16
	s_mov_b64 s[22:23], exec
	v_mbcnt_lo_u32_b32 v2, s22, 0
	v_mbcnt_hi_u32_b32 v2, s23, v2
	v_cmp_eq_u32_e32 vcc, 0, v2
	s_and_saveexec_b64 s[20:21], vcc
	s_cbranch_execz .LBB1_347
; %bb.346:                              ;   in Loop: Header=BB1_227 Depth=2
	s_bcnt1_i32_b64 s22, s[22:23]
	v_mov_b32_e32 v46, s22
	buffer_wbl2
	s_waitcnt vmcnt(0)
	global_atomic_add_x2 v[0:1], v[46:47], off offset:8
.LBB1_347:                              ;   in Loop: Header=BB1_227 Depth=2
	s_or_b64 exec, exec, s[20:21]
	s_waitcnt vmcnt(0)
	global_load_dwordx2 v[2:3], v[0:1], off offset:16
	s_waitcnt vmcnt(0)
	v_cmp_eq_u64_e32 vcc, 0, v[2:3]
	s_cbranch_vccnz .LBB1_349
; %bb.348:                              ;   in Loop: Header=BB1_227 Depth=2
	global_load_dword v46, v[0:1], off offset:24
	s_waitcnt vmcnt(0)
	v_and_b32_e32 v0, 0xffffff, v46
	v_readfirstlane_b32 m0, v0
	buffer_wbl2
	global_store_dwordx2 v[2:3], v[46:47], off
	s_sendmsg sendmsg(MSG_INTERRUPT)
.LBB1_349:                              ;   in Loop: Header=BB1_227 Depth=2
	s_or_b64 exec, exec, s[18:19]
	v_add_co_u32_e32 v0, vcc, v8, v31
	v_addc_co_u32_e32 v1, vcc, 0, v5, vcc
	s_branch .LBB1_353
.LBB1_350:                              ;   in Loop: Header=BB1_353 Depth=3
	s_or_b64 exec, exec, s[18:19]
	v_readfirstlane_b32 s18, v2
	s_cmp_eq_u32 s18, 0
	s_cbranch_scc1 .LBB1_352
; %bb.351:                              ;   in Loop: Header=BB1_353 Depth=3
	s_sleep 1
	s_cbranch_execnz .LBB1_353
	s_branch .LBB1_427
.LBB1_352:                              ;   in Loop: Header=BB1_227 Depth=2
	s_branch .LBB1_427
.LBB1_353:                              ;   Parent Loop BB1_13 Depth=1
                                        ;     Parent Loop BB1_227 Depth=2
                                        ; =>    This Inner Loop Header: Depth=3
	v_mov_b32_e32 v2, 1
	s_and_saveexec_b64 s[18:19], s[4:5]
	s_cbranch_execz .LBB1_350
; %bb.354:                              ;   in Loop: Header=BB1_353 Depth=3
	global_load_dword v2, v[6:7], off offset:20 glc
	s_waitcnt vmcnt(0)
	buffer_invl2
	buffer_wbinvl1_vol
	v_and_b32_e32 v2, 1, v2
	s_branch .LBB1_350
.LBB1_355:                              ;   in Loop: Header=BB1_227 Depth=2
	v_cmp_gt_u32_e32 vcc, v5, v16
	s_and_b64 s[4:5], vcc, exec
	s_andn2_saveexec_b64 s[6:7], s[6:7]
	s_cbranch_execz .LBB1_286
.LBB1_356:                              ;   in Loop: Header=BB1_227 Depth=2
	v_cmp_ne_u32_e32 vcc, v6, v7
                                        ; implicit-def: $sgpr8_sgpr9
	s_and_saveexec_b64 s[16:17], vcc
	s_xor_b64 s[16:17], exec, s[16:17]
; %bb.357:                              ;   in Loop: Header=BB1_227 Depth=2
	v_cmp_gt_u32_e32 vcc, v6, v7
	s_and_b64 s[8:9], vcc, exec
; %bb.358:                              ;   in Loop: Header=BB1_227 Depth=2
	s_andn2_saveexec_b64 s[16:17], s[16:17]
; %bb.359:                              ;   in Loop: Header=BB1_227 Depth=2
	v_cmp_ge_u32_e32 vcc, v0, v1
	s_andn2_b64 s[8:9], s[8:9], exec
	s_and_b64 s[18:19], vcc, exec
	s_or_b64 s[8:9], s[8:9], s[18:19]
; %bb.360:                              ;   in Loop: Header=BB1_227 Depth=2
	s_or_b64 exec, exec, s[16:17]
	s_andn2_b64 s[4:5], s[4:5], exec
	s_and_b64 s[8:9], s[8:9], exec
	s_or_b64 s[4:5], s[4:5], s[8:9]
	s_or_b64 exec, exec, s[6:7]
	s_and_saveexec_b64 s[6:7], s[4:5]
	s_cbranch_execnz .LBB1_287
	s_branch .LBB1_288
.LBB1_361:                              ;   in Loop: Header=BB1_227 Depth=2
	v_cmp_gt_u32_e32 vcc, v5, v15
	s_and_b64 s[4:5], vcc, exec
	s_andn2_saveexec_b64 s[6:7], s[6:7]
	s_cbranch_execz .LBB1_290
.LBB1_362:                              ;   in Loop: Header=BB1_227 Depth=2
	buffer_load_dword v0, off, s[0:3], 0 offset:4
                                        ; implicit-def: $sgpr8_sgpr9
	s_waitcnt vmcnt(0)
	v_cmp_ne_u32_e32 vcc, v0, v8
	s_and_saveexec_b64 s[16:17], vcc
	s_xor_b64 s[16:17], exec, s[16:17]
; %bb.363:                              ;   in Loop: Header=BB1_227 Depth=2
	v_cmp_gt_u32_e32 vcc, v0, v8
	s_and_b64 s[8:9], vcc, exec
; %bb.364:                              ;   in Loop: Header=BB1_227 Depth=2
	s_andn2_saveexec_b64 s[16:17], s[16:17]
	s_cbranch_execz .LBB1_366
; %bb.365:                              ;   in Loop: Header=BB1_227 Depth=2
	buffer_load_dword v0, off, s[0:3], 0 offset:8
	s_andn2_b64 s[8:9], s[8:9], exec
	s_waitcnt vmcnt(0)
	v_cmp_ge_u32_e32 vcc, v0, v2
	s_and_b64 s[18:19], vcc, exec
	s_or_b64 s[8:9], s[8:9], s[18:19]
.LBB1_366:                              ;   in Loop: Header=BB1_227 Depth=2
	s_or_b64 exec, exec, s[16:17]
	s_andn2_b64 s[4:5], s[4:5], exec
	s_and_b64 s[8:9], s[8:9], exec
	s_or_b64 s[4:5], s[4:5], s[8:9]
	s_or_b64 exec, exec, s[6:7]
	s_and_saveexec_b64 s[6:7], s[4:5]
	s_cbranch_execnz .LBB1_291
	s_branch .LBB1_292
.LBB1_367:                              ;   in Loop: Header=BB1_227 Depth=2
	v_cmp_gt_u32_e32 vcc, v5, v14
	s_and_b64 s[4:5], vcc, exec
                                        ; implicit-def: $vgpr0_vgpr1_vgpr2_vgpr3
                                        ; implicit-def: $vgpr6_vgpr7_vgpr8_vgpr9
	s_andn2_saveexec_b64 s[6:7], s[6:7]
	s_cbranch_execz .LBB1_294
.LBB1_368:                              ;   in Loop: Header=BB1_227 Depth=2
	buffer_load_dword v0, off, s[0:3], 0 offset:4
                                        ; implicit-def: $sgpr8_sgpr9
	s_waitcnt vmcnt(0)
	v_cmp_ne_u32_e32 vcc, v0, v9
	s_and_saveexec_b64 s[16:17], vcc
	s_xor_b64 s[16:17], exec, s[16:17]
; %bb.369:                              ;   in Loop: Header=BB1_227 Depth=2
	v_cmp_gt_u32_e32 vcc, v0, v9
	s_and_b64 s[8:9], vcc, exec
                                        ; implicit-def: $vgpr0_vgpr1_vgpr2_vgpr3
; %bb.370:                              ;   in Loop: Header=BB1_227 Depth=2
	s_andn2_saveexec_b64 s[16:17], s[16:17]
	s_cbranch_execz .LBB1_372
; %bb.371:                              ;   in Loop: Header=BB1_227 Depth=2
	buffer_load_dword v0, off, s[0:3], 0 offset:8
	s_andn2_b64 s[8:9], s[8:9], exec
	s_waitcnt vmcnt(0)
	v_cmp_ge_u32_e32 vcc, v0, v3
	s_and_b64 s[18:19], vcc, exec
	s_or_b64 s[8:9], s[8:9], s[18:19]
.LBB1_372:                              ;   in Loop: Header=BB1_227 Depth=2
	s_or_b64 exec, exec, s[16:17]
	s_andn2_b64 s[4:5], s[4:5], exec
	s_and_b64 s[8:9], s[8:9], exec
	s_or_b64 s[4:5], s[4:5], s[8:9]
	s_or_b64 exec, exec, s[6:7]
	s_and_saveexec_b64 s[6:7], s[4:5]
	s_cbranch_execnz .LBB1_295
	s_branch .LBB1_296
.LBB1_373:                              ;   in Loop: Header=BB1_227 Depth=2
	v_cmp_gt_u32_e32 vcc, v0, v5
	s_and_b64 s[4:5], vcc, exec
	s_andn2_saveexec_b64 s[6:7], s[6:7]
	s_cbranch_execz .LBB1_298
.LBB1_374:                              ;   in Loop: Header=BB1_227 Depth=2
	buffer_load_dword v1, off, s[0:3], 0 offset:4
	buffer_load_dword v2, off, s[0:3], 0 offset:20
                                        ; implicit-def: $sgpr8_sgpr9
	s_waitcnt vmcnt(0)
	v_cmp_ne_u32_e32 vcc, v2, v1
	s_and_saveexec_b64 s[16:17], vcc
	s_xor_b64 s[16:17], exec, s[16:17]
; %bb.375:                              ;   in Loop: Header=BB1_227 Depth=2
	v_cmp_gt_u32_e32 vcc, v2, v1
	s_and_b64 s[8:9], vcc, exec
; %bb.376:                              ;   in Loop: Header=BB1_227 Depth=2
	s_andn2_saveexec_b64 s[16:17], s[16:17]
	s_cbranch_execz .LBB1_378
; %bb.377:                              ;   in Loop: Header=BB1_227 Depth=2
	buffer_load_dword v1, off, s[0:3], 0 offset:8
	buffer_load_dword v2, off, s[0:3], 0 offset:24
	s_andn2_b64 s[8:9], s[8:9], exec
	s_waitcnt vmcnt(0)
	v_cmp_ge_u32_e32 vcc, v2, v1
	s_and_b64 s[18:19], vcc, exec
	s_or_b64 s[8:9], s[8:9], s[18:19]
.LBB1_378:                              ;   in Loop: Header=BB1_227 Depth=2
	s_or_b64 exec, exec, s[16:17]
	s_andn2_b64 s[4:5], s[4:5], exec
	s_and_b64 s[8:9], s[8:9], exec
	s_or_b64 s[4:5], s[4:5], s[8:9]
	s_or_b64 exec, exec, s[6:7]
	s_and_saveexec_b64 s[6:7], s[4:5]
	s_cbranch_execnz .LBB1_299
	s_branch .LBB1_300
.LBB1_379:                              ;   in Loop: Header=BB1_227 Depth=2
	v_cmp_gt_u32_e32 vcc, v0, v1
	s_and_b64 s[4:5], vcc, exec
	s_andn2_saveexec_b64 s[6:7], s[6:7]
	s_cbranch_execz .LBB1_302
.LBB1_380:                              ;   in Loop: Header=BB1_227 Depth=2
	buffer_load_dword v1, off, s[0:3], 0 offset:20
	buffer_load_dword v2, off, s[0:3], 0 offset:36
                                        ; implicit-def: $sgpr8_sgpr9
	s_waitcnt vmcnt(0)
	v_cmp_ne_u32_e32 vcc, v1, v2
	s_and_saveexec_b64 s[16:17], vcc
	s_xor_b64 s[16:17], exec, s[16:17]
; %bb.381:                              ;   in Loop: Header=BB1_227 Depth=2
	v_cmp_gt_u32_e32 vcc, v1, v2
	s_and_b64 s[8:9], vcc, exec
; %bb.382:                              ;   in Loop: Header=BB1_227 Depth=2
	s_andn2_saveexec_b64 s[16:17], s[16:17]
	s_cbranch_execz .LBB1_384
; %bb.383:                              ;   in Loop: Header=BB1_227 Depth=2
	buffer_load_dword v1, off, s[0:3], 0 offset:24
	buffer_load_dword v2, off, s[0:3], 0 offset:40
	s_andn2_b64 s[8:9], s[8:9], exec
	s_waitcnt vmcnt(0)
	v_cmp_ge_u32_e32 vcc, v1, v2
	s_and_b64 s[18:19], vcc, exec
	s_or_b64 s[8:9], s[8:9], s[18:19]
.LBB1_384:                              ;   in Loop: Header=BB1_227 Depth=2
	s_or_b64 exec, exec, s[16:17]
	s_andn2_b64 s[4:5], s[4:5], exec
	s_and_b64 s[8:9], s[8:9], exec
	s_or_b64 s[4:5], s[4:5], s[8:9]
	s_or_b64 exec, exec, s[6:7]
	s_and_saveexec_b64 s[6:7], s[4:5]
	s_cbranch_execnz .LBB1_303
	s_branch .LBB1_304
.LBB1_385:                              ;   in Loop: Header=BB1_227 Depth=2
	v_cmp_gt_u32_e32 vcc, v0, v1
	s_and_b64 s[4:5], vcc, exec
	s_andn2_saveexec_b64 s[6:7], s[6:7]
	s_cbranch_execz .LBB1_306
.LBB1_386:                              ;   in Loop: Header=BB1_227 Depth=2
	buffer_load_dword v0, off, s[0:3], 0 offset:20
	buffer_load_dword v1, off, s[0:3], 0 offset:52
                                        ; implicit-def: $sgpr8_sgpr9
	s_waitcnt vmcnt(0)
	v_cmp_ne_u32_e32 vcc, v0, v1
	s_and_saveexec_b64 s[16:17], vcc
	s_xor_b64 s[16:17], exec, s[16:17]
; %bb.387:                              ;   in Loop: Header=BB1_227 Depth=2
	v_cmp_gt_u32_e32 vcc, v0, v1
	s_and_b64 s[8:9], vcc, exec
; %bb.388:                              ;   in Loop: Header=BB1_227 Depth=2
	s_andn2_saveexec_b64 s[16:17], s[16:17]
	s_cbranch_execz .LBB1_390
; %bb.389:                              ;   in Loop: Header=BB1_227 Depth=2
	buffer_load_dword v0, off, s[0:3], 0 offset:24
	buffer_load_dword v1, off, s[0:3], 0 offset:56
	s_andn2_b64 s[8:9], s[8:9], exec
	s_waitcnt vmcnt(0)
	v_cmp_ge_u32_e32 vcc, v0, v1
	s_and_b64 s[18:19], vcc, exec
	s_or_b64 s[8:9], s[8:9], s[18:19]
.LBB1_390:                              ;   in Loop: Header=BB1_227 Depth=2
	s_or_b64 exec, exec, s[16:17]
	s_andn2_b64 s[4:5], s[4:5], exec
	s_and_b64 s[8:9], s[8:9], exec
	s_or_b64 s[4:5], s[4:5], s[8:9]
	s_or_b64 exec, exec, s[6:7]
	s_and_saveexec_b64 s[6:7], s[4:5]
	s_cbranch_execnz .LBB1_307
	s_branch .LBB1_308
.LBB1_391:                              ;   in Loop: Header=BB1_227 Depth=2
	v_cmp_gt_u32_e32 vcc, v1, v0
	s_and_b64 s[4:5], vcc, exec
	s_andn2_saveexec_b64 s[6:7], s[6:7]
	s_cbranch_execz .LBB1_310
.LBB1_392:                              ;   in Loop: Header=BB1_227 Depth=2
	buffer_load_dword v0, off, s[0:3], 0 offset:4
	buffer_load_dword v2, off, s[0:3], 0 offset:36
                                        ; implicit-def: $sgpr8_sgpr9
	s_waitcnt vmcnt(0)
	v_cmp_ne_u32_e32 vcc, v2, v0
	s_and_saveexec_b64 s[16:17], vcc
	s_xor_b64 s[16:17], exec, s[16:17]
; %bb.393:                              ;   in Loop: Header=BB1_227 Depth=2
	v_cmp_gt_u32_e32 vcc, v2, v0
	s_and_b64 s[8:9], vcc, exec
; %bb.394:                              ;   in Loop: Header=BB1_227 Depth=2
	s_andn2_saveexec_b64 s[16:17], s[16:17]
	s_cbranch_execz .LBB1_396
; %bb.395:                              ;   in Loop: Header=BB1_227 Depth=2
	buffer_load_dword v0, off, s[0:3], 0 offset:8
	buffer_load_dword v2, off, s[0:3], 0 offset:40
	s_andn2_b64 s[8:9], s[8:9], exec
	s_waitcnt vmcnt(0)
	v_cmp_ge_u32_e32 vcc, v2, v0
	s_and_b64 s[18:19], vcc, exec
	s_or_b64 s[8:9], s[8:9], s[18:19]
.LBB1_396:                              ;   in Loop: Header=BB1_227 Depth=2
	s_or_b64 exec, exec, s[16:17]
	s_andn2_b64 s[4:5], s[4:5], exec
	s_and_b64 s[8:9], s[8:9], exec
	s_or_b64 s[4:5], s[4:5], s[8:9]
	s_or_b64 exec, exec, s[6:7]
	s_and_saveexec_b64 s[6:7], s[4:5]
	s_cbranch_execnz .LBB1_311
	s_branch .LBB1_312
.LBB1_397:                              ;   in Loop: Header=BB1_227 Depth=2
	v_cmp_gt_u32_e32 vcc, v1, v0
	s_and_b64 s[4:5], vcc, exec
	s_andn2_saveexec_b64 s[6:7], s[6:7]
	s_cbranch_execz .LBB1_314
.LBB1_398:                              ;   in Loop: Header=BB1_227 Depth=2
	buffer_load_dword v0, off, s[0:3], 0 offset:20
	buffer_load_dword v2, off, s[0:3], 0 offset:36
                                        ; implicit-def: $sgpr8_sgpr9
	s_waitcnt vmcnt(0)
	v_cmp_ne_u32_e32 vcc, v2, v0
	s_and_saveexec_b64 s[16:17], vcc
	s_xor_b64 s[16:17], exec, s[16:17]
; %bb.399:                              ;   in Loop: Header=BB1_227 Depth=2
	v_cmp_gt_u32_e32 vcc, v2, v0
	s_and_b64 s[8:9], vcc, exec
; %bb.400:                              ;   in Loop: Header=BB1_227 Depth=2
	s_andn2_saveexec_b64 s[16:17], s[16:17]
	s_cbranch_execz .LBB1_402
; %bb.401:                              ;   in Loop: Header=BB1_227 Depth=2
	buffer_load_dword v0, off, s[0:3], 0 offset:24
	buffer_load_dword v2, off, s[0:3], 0 offset:40
	s_andn2_b64 s[8:9], s[8:9], exec
	s_waitcnt vmcnt(0)
	v_cmp_ge_u32_e32 vcc, v2, v0
	s_and_b64 s[18:19], vcc, exec
	s_or_b64 s[8:9], s[8:9], s[18:19]
.LBB1_402:                              ;   in Loop: Header=BB1_227 Depth=2
	s_or_b64 exec, exec, s[16:17]
	s_andn2_b64 s[4:5], s[4:5], exec
	s_and_b64 s[8:9], s[8:9], exec
	s_or_b64 s[4:5], s[4:5], s[8:9]
	s_or_b64 exec, exec, s[6:7]
	s_and_saveexec_b64 s[6:7], s[4:5]
	s_cbranch_execnz .LBB1_315
	s_branch .LBB1_316
.LBB1_403:                              ;   in Loop: Header=BB1_227 Depth=2
	v_cmp_gt_u32_e32 vcc, v1, v0
	s_and_b64 s[4:5], vcc, exec
	s_andn2_saveexec_b64 s[6:7], s[6:7]
	s_cbranch_execz .LBB1_318
.LBB1_404:                              ;   in Loop: Header=BB1_227 Depth=2
	buffer_load_dword v1, off, s[0:3], 0 offset:36
	buffer_load_dword v2, off, s[0:3], 0 offset:52
                                        ; implicit-def: $sgpr8_sgpr9
	s_waitcnt vmcnt(0)
	v_cmp_ne_u32_e32 vcc, v1, v2
	s_and_saveexec_b64 s[16:17], vcc
	s_xor_b64 s[16:17], exec, s[16:17]
; %bb.405:                              ;   in Loop: Header=BB1_227 Depth=2
	v_cmp_gt_u32_e32 vcc, v1, v2
	s_and_b64 s[8:9], vcc, exec
; %bb.406:                              ;   in Loop: Header=BB1_227 Depth=2
	s_andn2_saveexec_b64 s[16:17], s[16:17]
	s_cbranch_execz .LBB1_408
; %bb.407:                              ;   in Loop: Header=BB1_227 Depth=2
	buffer_load_dword v1, off, s[0:3], 0 offset:40
	buffer_load_dword v2, off, s[0:3], 0 offset:56
	s_andn2_b64 s[8:9], s[8:9], exec
	s_waitcnt vmcnt(0)
	v_cmp_ge_u32_e32 vcc, v1, v2
	s_and_b64 s[18:19], vcc, exec
	s_or_b64 s[8:9], s[8:9], s[18:19]
.LBB1_408:                              ;   in Loop: Header=BB1_227 Depth=2
	s_or_b64 exec, exec, s[16:17]
	s_andn2_b64 s[4:5], s[4:5], exec
	s_and_b64 s[8:9], s[8:9], exec
	s_or_b64 s[4:5], s[4:5], s[8:9]
	s_or_b64 exec, exec, s[6:7]
	s_and_saveexec_b64 s[6:7], s[4:5]
	s_cbranch_execnz .LBB1_319
	s_branch .LBB1_320
.LBB1_409:                              ;   in Loop: Header=BB1_227 Depth=2
	v_cmp_gt_u32_e32 vcc, v0, v1
	s_and_b64 s[4:5], vcc, exec
	s_andn2_saveexec_b64 s[6:7], s[6:7]
	s_cbranch_execz .LBB1_322
.LBB1_410:                              ;   in Loop: Header=BB1_227 Depth=2
	buffer_load_dword v1, off, s[0:3], 0 offset:4
	buffer_load_dword v2, off, s[0:3], 0 offset:52
                                        ; implicit-def: $sgpr8_sgpr9
	s_waitcnt vmcnt(0)
	v_cmp_ne_u32_e32 vcc, v2, v1
	s_and_saveexec_b64 s[16:17], vcc
	s_xor_b64 s[16:17], exec, s[16:17]
; %bb.411:                              ;   in Loop: Header=BB1_227 Depth=2
	v_cmp_gt_u32_e32 vcc, v2, v1
	s_and_b64 s[8:9], vcc, exec
; %bb.412:                              ;   in Loop: Header=BB1_227 Depth=2
	s_andn2_saveexec_b64 s[16:17], s[16:17]
	s_cbranch_execz .LBB1_414
; %bb.413:                              ;   in Loop: Header=BB1_227 Depth=2
	buffer_load_dword v1, off, s[0:3], 0 offset:8
	buffer_load_dword v2, off, s[0:3], 0 offset:56
	s_andn2_b64 s[8:9], s[8:9], exec
	s_waitcnt vmcnt(0)
	v_cmp_ge_u32_e32 vcc, v2, v1
	s_and_b64 s[18:19], vcc, exec
	s_or_b64 s[8:9], s[8:9], s[18:19]
.LBB1_414:                              ;   in Loop: Header=BB1_227 Depth=2
	s_or_b64 exec, exec, s[16:17]
	s_andn2_b64 s[4:5], s[4:5], exec
	s_and_b64 s[8:9], s[8:9], exec
	s_or_b64 s[4:5], s[4:5], s[8:9]
	s_or_b64 exec, exec, s[6:7]
	s_and_saveexec_b64 s[6:7], s[4:5]
	s_cbranch_execnz .LBB1_323
	s_branch .LBB1_324
.LBB1_415:                              ;   in Loop: Header=BB1_227 Depth=2
	v_cmp_gt_u32_e32 vcc, v0, v1
	s_and_b64 s[4:5], vcc, exec
	s_andn2_saveexec_b64 s[6:7], s[6:7]
	s_cbranch_execz .LBB1_326
.LBB1_416:                              ;   in Loop: Header=BB1_227 Depth=2
	buffer_load_dword v1, off, s[0:3], 0 offset:20
	buffer_load_dword v2, off, s[0:3], 0 offset:52
                                        ; implicit-def: $sgpr8_sgpr9
	s_waitcnt vmcnt(0)
	v_cmp_ne_u32_e32 vcc, v2, v1
	s_and_saveexec_b64 s[16:17], vcc
	s_xor_b64 s[16:17], exec, s[16:17]
; %bb.417:                              ;   in Loop: Header=BB1_227 Depth=2
	v_cmp_gt_u32_e32 vcc, v2, v1
	s_and_b64 s[8:9], vcc, exec
; %bb.418:                              ;   in Loop: Header=BB1_227 Depth=2
	s_andn2_saveexec_b64 s[16:17], s[16:17]
	s_cbranch_execz .LBB1_420
; %bb.419:                              ;   in Loop: Header=BB1_227 Depth=2
	buffer_load_dword v1, off, s[0:3], 0 offset:24
	buffer_load_dword v2, off, s[0:3], 0 offset:56
	s_andn2_b64 s[8:9], s[8:9], exec
	s_waitcnt vmcnt(0)
	v_cmp_ge_u32_e32 vcc, v2, v1
	s_and_b64 s[18:19], vcc, exec
	s_or_b64 s[8:9], s[8:9], s[18:19]
.LBB1_420:                              ;   in Loop: Header=BB1_227 Depth=2
	s_or_b64 exec, exec, s[16:17]
	s_andn2_b64 s[4:5], s[4:5], exec
	s_and_b64 s[8:9], s[8:9], exec
	s_or_b64 s[4:5], s[4:5], s[8:9]
	s_or_b64 exec, exec, s[6:7]
	s_and_saveexec_b64 s[6:7], s[4:5]
	s_cbranch_execnz .LBB1_327
	s_branch .LBB1_328
.LBB1_421:                              ;   in Loop: Header=BB1_227 Depth=2
	v_cmp_gt_u32_e32 vcc, v0, v1
	s_and_b64 s[4:5], vcc, exec
	s_andn2_saveexec_b64 s[6:7], s[6:7]
	s_cbranch_execz .LBB1_330
.LBB1_422:                              ;   in Loop: Header=BB1_227 Depth=2
	buffer_load_dword v0, off, s[0:3], 0 offset:36
	buffer_load_dword v1, off, s[0:3], 0 offset:52
                                        ; implicit-def: $sgpr8_sgpr9
	s_waitcnt vmcnt(0)
	v_cmp_ne_u32_e32 vcc, v1, v0
	s_and_saveexec_b64 s[16:17], vcc
	s_xor_b64 s[16:17], exec, s[16:17]
; %bb.423:                              ;   in Loop: Header=BB1_227 Depth=2
	v_cmp_gt_u32_e32 vcc, v1, v0
	s_and_b64 s[8:9], vcc, exec
; %bb.424:                              ;   in Loop: Header=BB1_227 Depth=2
	s_andn2_saveexec_b64 s[16:17], s[16:17]
	s_cbranch_execz .LBB1_426
; %bb.425:                              ;   in Loop: Header=BB1_227 Depth=2
	buffer_load_dword v0, off, s[0:3], 0 offset:40
	buffer_load_dword v1, off, s[0:3], 0 offset:56
	s_andn2_b64 s[8:9], s[8:9], exec
	s_waitcnt vmcnt(0)
	v_cmp_ge_u32_e32 vcc, v1, v0
	s_and_b64 s[18:19], vcc, exec
	s_or_b64 s[8:9], s[8:9], s[18:19]
.LBB1_426:                              ;   in Loop: Header=BB1_227 Depth=2
	s_or_b64 exec, exec, s[16:17]
	s_andn2_b64 s[4:5], s[4:5], exec
	s_and_b64 s[8:9], s[8:9], exec
	s_or_b64 s[4:5], s[4:5], s[8:9]
	s_or_b64 exec, exec, s[6:7]
	s_and_saveexec_b64 s[6:7], s[4:5]
	s_cbranch_execnz .LBB1_331
	s_branch .LBB1_332
.LBB1_427:                              ;   in Loop: Header=BB1_227 Depth=2
	global_load_dwordx2 v[0:1], v[0:1], off
	s_and_saveexec_b64 s[18:19], s[4:5]
	s_cbranch_execz .LBB1_431
; %bb.428:                              ;   in Loop: Header=BB1_227 Depth=2
	global_load_dwordx2 v[2:3], v47, s[8:9] offset:40
	global_load_dwordx2 v[10:11], v47, s[8:9] offset:24 glc
	global_load_dwordx2 v[12:13], v47, s[8:9]
	v_mov_b32_e32 v5, s17
	s_waitcnt vmcnt(2)
	v_add_co_u32_e32 v9, vcc, 1, v2
	v_addc_co_u32_e32 v14, vcc, 0, v3, vcc
	v_add_co_u32_e32 v6, vcc, s16, v9
	v_addc_co_u32_e32 v7, vcc, v14, v5, vcc
	v_cmp_eq_u64_e32 vcc, 0, v[6:7]
	v_cndmask_b32_e32 v7, v7, v14, vcc
	v_cndmask_b32_e32 v6, v6, v9, vcc
	v_and_b32_e32 v3, v7, v3
	v_and_b32_e32 v2, v6, v2
	v_mul_lo_u32 v3, v3, 24
	v_mul_hi_u32 v5, v2, 24
	v_mul_lo_u32 v2, v2, 24
	v_add_u32_e32 v3, v5, v3
	s_waitcnt vmcnt(0)
	v_add_co_u32_e32 v2, vcc, v12, v2
	v_addc_co_u32_e32 v3, vcc, v13, v3, vcc
	v_mov_b32_e32 v8, v10
	global_store_dwordx2 v[2:3], v[10:11], off
	v_mov_b32_e32 v9, v11
	buffer_wbl2
	s_waitcnt vmcnt(0)
	global_atomic_cmpswap_x2 v[8:9], v47, v[6:9], s[8:9] offset:24 glc
	s_waitcnt vmcnt(0)
	v_cmp_ne_u64_e32 vcc, v[8:9], v[10:11]
	s_and_b64 exec, exec, vcc
	s_cbranch_execz .LBB1_431
; %bb.429:                              ;   in Loop: Header=BB1_227 Depth=2
	s_mov_b64 s[4:5], 0
.LBB1_430:                              ;   Parent Loop BB1_13 Depth=1
                                        ;     Parent Loop BB1_227 Depth=2
                                        ; =>    This Inner Loop Header: Depth=3
	s_sleep 1
	global_store_dwordx2 v[2:3], v[8:9], off
	buffer_wbl2
	s_waitcnt vmcnt(0)
	global_atomic_cmpswap_x2 v[10:11], v47, v[6:9], s[8:9] offset:24 glc
	s_waitcnt vmcnt(0)
	v_cmp_eq_u64_e32 vcc, v[10:11], v[8:9]
	s_or_b64 s[4:5], vcc, s[4:5]
	v_pk_mov_b32 v[8:9], v[10:11], v[10:11] op_sel:[0,1]
	s_andn2_b64 exec, exec, s[4:5]
	s_cbranch_execnz .LBB1_430
.LBB1_431:                              ;   in Loop: Header=BB1_227 Depth=2
	s_or_b64 exec, exec, s[18:19]
	s_and_b64 vcc, exec, s[74:75]
	s_cbranch_vccz .LBB1_516
; %bb.432:                              ;   in Loop: Header=BB1_227 Depth=2
	s_waitcnt vmcnt(0)
	v_and_b32_e32 v6, -3, v0
	v_mov_b32_e32 v7, v1
	s_mov_b64 s[18:19], 53
	s_getpc_b64 s[16:17]
	s_add_u32 s16, s16, .str.4@rel32@lo+4
	s_addc_u32 s17, s17, .str.4@rel32@hi+12
	s_branch .LBB1_434
.LBB1_433:                              ;   in Loop: Header=BB1_434 Depth=3
	s_or_b64 exec, exec, s[24:25]
	s_sub_u32 s18, s18, s20
	s_subb_u32 s19, s19, s21
	s_add_u32 s16, s16, s20
	s_addc_u32 s17, s17, s21
	s_cmp_lg_u64 s[18:19], 0
	s_cbranch_scc0 .LBB1_515
.LBB1_434:                              ;   Parent Loop BB1_13 Depth=1
                                        ;     Parent Loop BB1_227 Depth=2
                                        ; =>    This Loop Header: Depth=3
                                        ;         Child Loop BB1_437 Depth 4
                                        ;         Child Loop BB1_444 Depth 4
	;; [unrolled: 1-line block ×11, first 2 shown]
	v_cmp_lt_u64_e64 s[4:5], s[18:19], 56
	s_and_b64 s[4:5], s[4:5], exec
	v_cmp_gt_u64_e64 s[4:5], s[18:19], 7
	s_cselect_b32 s21, s19, 0
	s_cselect_b32 s20, s18, 56
	s_and_b64 vcc, exec, s[4:5]
	s_cbranch_vccnz .LBB1_439
; %bb.435:                              ;   in Loop: Header=BB1_434 Depth=3
	s_mov_b64 s[4:5], 0
	s_cmp_eq_u64 s[18:19], 0
	s_waitcnt vmcnt(0)
	v_pk_mov_b32 v[8:9], 0, 0
	s_cbranch_scc1 .LBB1_438
; %bb.436:                              ;   in Loop: Header=BB1_434 Depth=3
	s_lshl_b64 s[22:23], s[20:21], 3
	s_mov_b64 s[24:25], 0
	v_pk_mov_b32 v[8:9], 0, 0
	s_mov_b64 s[26:27], s[16:17]
.LBB1_437:                              ;   Parent Loop BB1_13 Depth=1
                                        ;     Parent Loop BB1_227 Depth=2
                                        ;       Parent Loop BB1_434 Depth=3
                                        ; =>      This Inner Loop Header: Depth=4
	global_load_ubyte v2, v47, s[26:27]
	s_waitcnt vmcnt(0)
	v_and_b32_e32 v46, 0xffff, v2
	v_lshlrev_b64 v[2:3], s24, v[46:47]
	s_add_u32 s24, s24, 8
	s_addc_u32 s25, s25, 0
	s_add_u32 s26, s26, 1
	s_addc_u32 s27, s27, 0
	v_or_b32_e32 v8, v2, v8
	s_cmp_lg_u32 s22, s24
	v_or_b32_e32 v9, v3, v9
	s_cbranch_scc1 .LBB1_437
.LBB1_438:                              ;   in Loop: Header=BB1_434 Depth=3
	s_mov_b32 s26, 0
	s_andn2_b64 vcc, exec, s[4:5]
	s_mov_b64 s[4:5], s[16:17]
	s_cbranch_vccz .LBB1_440
	s_branch .LBB1_441
.LBB1_439:                              ;   in Loop: Header=BB1_434 Depth=3
                                        ; implicit-def: $sgpr26
	s_mov_b64 s[4:5], s[16:17]
.LBB1_440:                              ;   in Loop: Header=BB1_434 Depth=3
	global_load_dwordx2 v[8:9], v47, s[16:17]
	s_add_i32 s26, s20, -8
	s_add_u32 s4, s16, 8
	s_addc_u32 s5, s17, 0
.LBB1_441:                              ;   in Loop: Header=BB1_434 Depth=3
	s_cmp_gt_u32 s26, 7
	s_cbranch_scc1 .LBB1_445
; %bb.442:                              ;   in Loop: Header=BB1_434 Depth=3
	s_cmp_eq_u32 s26, 0
	s_cbranch_scc1 .LBB1_446
; %bb.443:                              ;   in Loop: Header=BB1_434 Depth=3
	s_mov_b64 s[22:23], 0
	v_pk_mov_b32 v[10:11], 0, 0
	s_mov_b64 s[24:25], 0
.LBB1_444:                              ;   Parent Loop BB1_13 Depth=1
                                        ;     Parent Loop BB1_227 Depth=2
                                        ;       Parent Loop BB1_434 Depth=3
                                        ; =>      This Inner Loop Header: Depth=4
	s_add_u32 s28, s4, s24
	s_addc_u32 s29, s5, s25
	global_load_ubyte v2, v47, s[28:29]
	s_add_u32 s24, s24, 1
	s_addc_u32 s25, s25, 0
	s_waitcnt vmcnt(0)
	v_and_b32_e32 v46, 0xffff, v2
	v_lshlrev_b64 v[2:3], s22, v[46:47]
	s_add_u32 s22, s22, 8
	s_addc_u32 s23, s23, 0
	v_or_b32_e32 v10, v2, v10
	s_cmp_lg_u32 s26, s24
	v_or_b32_e32 v11, v3, v11
	s_cbranch_scc1 .LBB1_444
	s_branch .LBB1_447
.LBB1_445:                              ;   in Loop: Header=BB1_434 Depth=3
                                        ; implicit-def: $vgpr10_vgpr11
                                        ; implicit-def: $sgpr27
	s_branch .LBB1_448
.LBB1_446:                              ;   in Loop: Header=BB1_434 Depth=3
	v_pk_mov_b32 v[10:11], 0, 0
.LBB1_447:                              ;   in Loop: Header=BB1_434 Depth=3
	s_mov_b32 s27, 0
	s_cbranch_execnz .LBB1_449
.LBB1_448:                              ;   in Loop: Header=BB1_434 Depth=3
	global_load_dwordx2 v[10:11], v47, s[4:5]
	s_add_i32 s27, s26, -8
	s_add_u32 s4, s4, 8
	s_addc_u32 s5, s5, 0
.LBB1_449:                              ;   in Loop: Header=BB1_434 Depth=3
	s_cmp_gt_u32 s27, 7
	s_cbranch_scc1 .LBB1_453
; %bb.450:                              ;   in Loop: Header=BB1_434 Depth=3
	s_cmp_eq_u32 s27, 0
	s_cbranch_scc1 .LBB1_454
; %bb.451:                              ;   in Loop: Header=BB1_434 Depth=3
	s_mov_b64 s[22:23], 0
	v_pk_mov_b32 v[12:13], 0, 0
	s_mov_b64 s[24:25], 0
.LBB1_452:                              ;   Parent Loop BB1_13 Depth=1
                                        ;     Parent Loop BB1_227 Depth=2
                                        ;       Parent Loop BB1_434 Depth=3
                                        ; =>      This Inner Loop Header: Depth=4
	s_add_u32 s28, s4, s24
	s_addc_u32 s29, s5, s25
	global_load_ubyte v2, v47, s[28:29]
	s_add_u32 s24, s24, 1
	s_addc_u32 s25, s25, 0
	s_waitcnt vmcnt(0)
	v_and_b32_e32 v46, 0xffff, v2
	v_lshlrev_b64 v[2:3], s22, v[46:47]
	s_add_u32 s22, s22, 8
	s_addc_u32 s23, s23, 0
	v_or_b32_e32 v12, v2, v12
	s_cmp_lg_u32 s27, s24
	v_or_b32_e32 v13, v3, v13
	s_cbranch_scc1 .LBB1_452
	s_branch .LBB1_455
.LBB1_453:                              ;   in Loop: Header=BB1_434 Depth=3
                                        ; implicit-def: $sgpr26
	s_branch .LBB1_456
.LBB1_454:                              ;   in Loop: Header=BB1_434 Depth=3
	v_pk_mov_b32 v[12:13], 0, 0
.LBB1_455:                              ;   in Loop: Header=BB1_434 Depth=3
	s_mov_b32 s26, 0
	s_cbranch_execnz .LBB1_457
.LBB1_456:                              ;   in Loop: Header=BB1_434 Depth=3
	global_load_dwordx2 v[12:13], v47, s[4:5]
	s_add_i32 s26, s27, -8
	s_add_u32 s4, s4, 8
	s_addc_u32 s5, s5, 0
.LBB1_457:                              ;   in Loop: Header=BB1_434 Depth=3
	s_cmp_gt_u32 s26, 7
	s_cbranch_scc1 .LBB1_461
; %bb.458:                              ;   in Loop: Header=BB1_434 Depth=3
	s_cmp_eq_u32 s26, 0
	s_cbranch_scc1 .LBB1_462
; %bb.459:                              ;   in Loop: Header=BB1_434 Depth=3
	s_mov_b64 s[22:23], 0
	v_pk_mov_b32 v[14:15], 0, 0
	s_mov_b64 s[24:25], 0
.LBB1_460:                              ;   Parent Loop BB1_13 Depth=1
                                        ;     Parent Loop BB1_227 Depth=2
                                        ;       Parent Loop BB1_434 Depth=3
                                        ; =>      This Inner Loop Header: Depth=4
	s_add_u32 s28, s4, s24
	s_addc_u32 s29, s5, s25
	global_load_ubyte v2, v47, s[28:29]
	s_add_u32 s24, s24, 1
	s_addc_u32 s25, s25, 0
	s_waitcnt vmcnt(0)
	v_and_b32_e32 v46, 0xffff, v2
	v_lshlrev_b64 v[2:3], s22, v[46:47]
	s_add_u32 s22, s22, 8
	s_addc_u32 s23, s23, 0
	v_or_b32_e32 v14, v2, v14
	s_cmp_lg_u32 s26, s24
	v_or_b32_e32 v15, v3, v15
	s_cbranch_scc1 .LBB1_460
	s_branch .LBB1_463
.LBB1_461:                              ;   in Loop: Header=BB1_434 Depth=3
                                        ; implicit-def: $vgpr14_vgpr15
                                        ; implicit-def: $sgpr27
	s_branch .LBB1_464
.LBB1_462:                              ;   in Loop: Header=BB1_434 Depth=3
	v_pk_mov_b32 v[14:15], 0, 0
.LBB1_463:                              ;   in Loop: Header=BB1_434 Depth=3
	s_mov_b32 s27, 0
	s_cbranch_execnz .LBB1_465
.LBB1_464:                              ;   in Loop: Header=BB1_434 Depth=3
	global_load_dwordx2 v[14:15], v47, s[4:5]
	s_add_i32 s27, s26, -8
	s_add_u32 s4, s4, 8
	s_addc_u32 s5, s5, 0
.LBB1_465:                              ;   in Loop: Header=BB1_434 Depth=3
	s_cmp_gt_u32 s27, 7
	s_cbranch_scc1 .LBB1_469
; %bb.466:                              ;   in Loop: Header=BB1_434 Depth=3
	s_cmp_eq_u32 s27, 0
	s_cbranch_scc1 .LBB1_470
; %bb.467:                              ;   in Loop: Header=BB1_434 Depth=3
	s_mov_b64 s[22:23], 0
	v_pk_mov_b32 v[16:17], 0, 0
	s_mov_b64 s[24:25], 0
.LBB1_468:                              ;   Parent Loop BB1_13 Depth=1
                                        ;     Parent Loop BB1_227 Depth=2
                                        ;       Parent Loop BB1_434 Depth=3
                                        ; =>      This Inner Loop Header: Depth=4
	s_add_u32 s28, s4, s24
	s_addc_u32 s29, s5, s25
	global_load_ubyte v2, v47, s[28:29]
	s_add_u32 s24, s24, 1
	s_addc_u32 s25, s25, 0
	s_waitcnt vmcnt(0)
	v_and_b32_e32 v46, 0xffff, v2
	v_lshlrev_b64 v[2:3], s22, v[46:47]
	s_add_u32 s22, s22, 8
	s_addc_u32 s23, s23, 0
	v_or_b32_e32 v16, v2, v16
	s_cmp_lg_u32 s27, s24
	v_or_b32_e32 v17, v3, v17
	s_cbranch_scc1 .LBB1_468
	s_branch .LBB1_471
.LBB1_469:                              ;   in Loop: Header=BB1_434 Depth=3
                                        ; implicit-def: $sgpr26
	s_branch .LBB1_472
.LBB1_470:                              ;   in Loop: Header=BB1_434 Depth=3
	v_pk_mov_b32 v[16:17], 0, 0
.LBB1_471:                              ;   in Loop: Header=BB1_434 Depth=3
	s_mov_b32 s26, 0
	s_cbranch_execnz .LBB1_473
.LBB1_472:                              ;   in Loop: Header=BB1_434 Depth=3
	global_load_dwordx2 v[16:17], v47, s[4:5]
	s_add_i32 s26, s27, -8
	s_add_u32 s4, s4, 8
	s_addc_u32 s5, s5, 0
.LBB1_473:                              ;   in Loop: Header=BB1_434 Depth=3
	s_cmp_gt_u32 s26, 7
	s_cbranch_scc1 .LBB1_477
; %bb.474:                              ;   in Loop: Header=BB1_434 Depth=3
	s_cmp_eq_u32 s26, 0
	s_cbranch_scc1 .LBB1_478
; %bb.475:                              ;   in Loop: Header=BB1_434 Depth=3
	s_mov_b64 s[22:23], 0
	v_pk_mov_b32 v[18:19], 0, 0
	s_mov_b64 s[24:25], 0
.LBB1_476:                              ;   Parent Loop BB1_13 Depth=1
                                        ;     Parent Loop BB1_227 Depth=2
                                        ;       Parent Loop BB1_434 Depth=3
                                        ; =>      This Inner Loop Header: Depth=4
	s_add_u32 s28, s4, s24
	s_addc_u32 s29, s5, s25
	global_load_ubyte v2, v47, s[28:29]
	s_add_u32 s24, s24, 1
	s_addc_u32 s25, s25, 0
	s_waitcnt vmcnt(0)
	v_and_b32_e32 v46, 0xffff, v2
	v_lshlrev_b64 v[2:3], s22, v[46:47]
	s_add_u32 s22, s22, 8
	s_addc_u32 s23, s23, 0
	v_or_b32_e32 v18, v2, v18
	s_cmp_lg_u32 s26, s24
	v_or_b32_e32 v19, v3, v19
	s_cbranch_scc1 .LBB1_476
	s_branch .LBB1_479
.LBB1_477:                              ;   in Loop: Header=BB1_434 Depth=3
                                        ; implicit-def: $vgpr18_vgpr19
                                        ; implicit-def: $sgpr27
	s_branch .LBB1_480
.LBB1_478:                              ;   in Loop: Header=BB1_434 Depth=3
	v_pk_mov_b32 v[18:19], 0, 0
.LBB1_479:                              ;   in Loop: Header=BB1_434 Depth=3
	s_mov_b32 s27, 0
	s_cbranch_execnz .LBB1_481
.LBB1_480:                              ;   in Loop: Header=BB1_434 Depth=3
	global_load_dwordx2 v[18:19], v47, s[4:5]
	s_add_i32 s27, s26, -8
	s_add_u32 s4, s4, 8
	s_addc_u32 s5, s5, 0
.LBB1_481:                              ;   in Loop: Header=BB1_434 Depth=3
	s_cmp_gt_u32 s27, 7
	s_cbranch_scc1 .LBB1_485
; %bb.482:                              ;   in Loop: Header=BB1_434 Depth=3
	s_cmp_eq_u32 s27, 0
	s_cbranch_scc1 .LBB1_486
; %bb.483:                              ;   in Loop: Header=BB1_434 Depth=3
	s_mov_b64 s[22:23], 0
	v_pk_mov_b32 v[20:21], 0, 0
	s_mov_b64 s[24:25], s[4:5]
.LBB1_484:                              ;   Parent Loop BB1_13 Depth=1
                                        ;     Parent Loop BB1_227 Depth=2
                                        ;       Parent Loop BB1_434 Depth=3
                                        ; =>      This Inner Loop Header: Depth=4
	global_load_ubyte v2, v47, s[24:25]
	s_add_i32 s27, s27, -1
	s_waitcnt vmcnt(0)
	v_and_b32_e32 v46, 0xffff, v2
	v_lshlrev_b64 v[2:3], s22, v[46:47]
	s_add_u32 s22, s22, 8
	s_addc_u32 s23, s23, 0
	s_add_u32 s24, s24, 1
	s_addc_u32 s25, s25, 0
	v_or_b32_e32 v20, v2, v20
	s_cmp_lg_u32 s27, 0
	v_or_b32_e32 v21, v3, v21
	s_cbranch_scc1 .LBB1_484
	s_branch .LBB1_487
.LBB1_485:                              ;   in Loop: Header=BB1_434 Depth=3
	s_branch .LBB1_488
.LBB1_486:                              ;   in Loop: Header=BB1_434 Depth=3
	v_pk_mov_b32 v[20:21], 0, 0
.LBB1_487:                              ;   in Loop: Header=BB1_434 Depth=3
	s_cbranch_execnz .LBB1_489
.LBB1_488:                              ;   in Loop: Header=BB1_434 Depth=3
	global_load_dwordx2 v[20:21], v47, s[4:5]
.LBB1_489:                              ;   in Loop: Header=BB1_434 Depth=3
	v_readfirstlane_b32 s4, v98
	v_cmp_eq_u32_e64 s[4:5], s4, v98
	v_pk_mov_b32 v[2:3], 0, 0
	s_and_saveexec_b64 s[22:23], s[4:5]
	s_cbranch_execz .LBB1_495
; %bb.490:                              ;   in Loop: Header=BB1_434 Depth=3
	global_load_dwordx2 v[24:25], v47, s[8:9] offset:24 glc
	s_waitcnt vmcnt(0)
	buffer_invl2
	buffer_wbinvl1_vol
	global_load_dwordx2 v[2:3], v47, s[8:9] offset:40
	global_load_dwordx2 v[22:23], v47, s[8:9]
	s_waitcnt vmcnt(1)
	v_and_b32_e32 v2, v2, v24
	v_and_b32_e32 v3, v3, v25
	v_mul_lo_u32 v3, v3, 24
	v_mul_hi_u32 v5, v2, 24
	v_mul_lo_u32 v2, v2, 24
	v_add_u32_e32 v3, v5, v3
	s_waitcnt vmcnt(0)
	v_add_co_u32_e32 v2, vcc, v22, v2
	v_addc_co_u32_e32 v3, vcc, v23, v3, vcc
	global_load_dwordx2 v[22:23], v[2:3], off glc
	s_waitcnt vmcnt(0)
	global_atomic_cmpswap_x2 v[2:3], v47, v[22:25], s[8:9] offset:24 glc
	s_waitcnt vmcnt(0)
	buffer_invl2
	buffer_wbinvl1_vol
	v_cmp_ne_u64_e32 vcc, v[2:3], v[24:25]
	s_and_saveexec_b64 s[24:25], vcc
	s_cbranch_execz .LBB1_494
; %bb.491:                              ;   in Loop: Header=BB1_434 Depth=3
	s_mov_b64 s[26:27], 0
.LBB1_492:                              ;   Parent Loop BB1_13 Depth=1
                                        ;     Parent Loop BB1_227 Depth=2
                                        ;       Parent Loop BB1_434 Depth=3
                                        ; =>      This Inner Loop Header: Depth=4
	s_sleep 1
	global_load_dwordx2 v[22:23], v47, s[8:9] offset:40
	global_load_dwordx2 v[32:33], v47, s[8:9]
	v_pk_mov_b32 v[24:25], v[2:3], v[2:3] op_sel:[0,1]
	s_waitcnt vmcnt(1)
	v_and_b32_e32 v2, v22, v24
	s_waitcnt vmcnt(0)
	v_mad_u64_u32 v[2:3], s[28:29], v2, 24, v[32:33]
	v_and_b32_e32 v5, v23, v25
	v_mov_b32_e32 v22, v3
	v_mad_u64_u32 v[22:23], s[28:29], v5, 24, v[22:23]
	v_mov_b32_e32 v3, v22
	global_load_dwordx2 v[22:23], v[2:3], off glc
	s_waitcnt vmcnt(0)
	global_atomic_cmpswap_x2 v[2:3], v47, v[22:25], s[8:9] offset:24 glc
	s_waitcnt vmcnt(0)
	buffer_invl2
	buffer_wbinvl1_vol
	v_cmp_eq_u64_e32 vcc, v[2:3], v[24:25]
	s_or_b64 s[26:27], vcc, s[26:27]
	s_andn2_b64 exec, exec, s[26:27]
	s_cbranch_execnz .LBB1_492
; %bb.493:                              ;   in Loop: Header=BB1_434 Depth=3
	s_or_b64 exec, exec, s[26:27]
.LBB1_494:                              ;   in Loop: Header=BB1_434 Depth=3
	s_or_b64 exec, exec, s[24:25]
.LBB1_495:                              ;   in Loop: Header=BB1_434 Depth=3
	s_or_b64 exec, exec, s[22:23]
	global_load_dwordx2 v[32:33], v47, s[8:9] offset:40
	global_load_dwordx4 v[22:25], v47, s[8:9]
	v_readfirstlane_b32 s22, v2
	v_readfirstlane_b32 s23, v3
	s_mov_b64 s[24:25], exec
	s_waitcnt vmcnt(1)
	v_readfirstlane_b32 s26, v32
	v_readfirstlane_b32 s27, v33
	s_and_b64 s[26:27], s[22:23], s[26:27]
	s_mul_i32 s28, s27, 24
	s_mul_hi_u32 s29, s26, 24
	s_mul_i32 s30, s26, 24
	s_add_i32 s28, s29, s28
	v_mov_b32_e32 v3, s28
	s_waitcnt vmcnt(0)
	v_add_co_u32_e32 v2, vcc, s30, v22
	v_addc_co_u32_e32 v3, vcc, v23, v3, vcc
	s_and_saveexec_b64 s[28:29], s[4:5]
	s_cbranch_execz .LBB1_497
; %bb.496:                              ;   in Loop: Header=BB1_434 Depth=3
	v_pk_mov_b32 v[56:57], s[24:25], s[24:25] op_sel:[0,1]
	global_store_dwordx4 v[2:3], v[56:59], off offset:8
.LBB1_497:                              ;   in Loop: Header=BB1_434 Depth=3
	s_or_b64 exec, exec, s[28:29]
	s_lshl_b64 s[24:25], s[26:27], 12
	v_mov_b32_e32 v5, s25
	v_add_co_u32_e32 v24, vcc, s24, v24
	v_addc_co_u32_e32 v5, vcc, v25, v5, vcc
	v_or_b32_e32 v25, 2, v6
	v_cmp_gt_u64_e64 vcc, s[18:19], 56
	s_lshl_b32 s24, s20, 2
	v_cndmask_b32_e32 v6, v25, v6, vcc
	s_add_i32 s24, s24, 28
	s_and_b32 s24, s24, 0x1e0
	v_and_b32_e32 v6, 0xffffff1f, v6
	v_or_b32_e32 v6, s24, v6
	v_readfirstlane_b32 s24, v24
	v_readfirstlane_b32 s25, v5
	s_nop 4
	global_store_dwordx4 v31, v[6:9], s[24:25]
	global_store_dwordx4 v31, v[10:13], s[24:25] offset:16
	global_store_dwordx4 v31, v[14:17], s[24:25] offset:32
	;; [unrolled: 1-line block ×3, first 2 shown]
	s_and_saveexec_b64 s[24:25], s[4:5]
	s_cbranch_execz .LBB1_505
; %bb.498:                              ;   in Loop: Header=BB1_434 Depth=3
	global_load_dwordx2 v[14:15], v47, s[8:9] offset:32 glc
	global_load_dwordx2 v[6:7], v47, s[8:9] offset:40
	v_mov_b32_e32 v12, s22
	v_mov_b32_e32 v13, s23
	s_waitcnt vmcnt(0)
	v_readfirstlane_b32 s26, v6
	v_readfirstlane_b32 s27, v7
	s_and_b64 s[26:27], s[26:27], s[22:23]
	s_mul_i32 s27, s27, 24
	s_mul_hi_u32 s28, s26, 24
	s_mul_i32 s26, s26, 24
	s_add_i32 s27, s28, s27
	v_mov_b32_e32 v6, s27
	v_add_co_u32_e32 v10, vcc, s26, v22
	v_addc_co_u32_e32 v11, vcc, v23, v6, vcc
	global_store_dwordx2 v[10:11], v[14:15], off
	buffer_wbl2
	s_waitcnt vmcnt(0)
	global_atomic_cmpswap_x2 v[8:9], v47, v[12:15], s[8:9] offset:32 glc
	s_waitcnt vmcnt(0)
	v_cmp_ne_u64_e32 vcc, v[8:9], v[14:15]
	s_and_saveexec_b64 s[26:27], vcc
	s_cbranch_execz .LBB1_501
; %bb.499:                              ;   in Loop: Header=BB1_434 Depth=3
	s_mov_b64 s[28:29], 0
.LBB1_500:                              ;   Parent Loop BB1_13 Depth=1
                                        ;     Parent Loop BB1_227 Depth=2
                                        ;       Parent Loop BB1_434 Depth=3
                                        ; =>      This Inner Loop Header: Depth=4
	s_sleep 1
	global_store_dwordx2 v[10:11], v[8:9], off
	v_mov_b32_e32 v6, s22
	v_mov_b32_e32 v7, s23
	buffer_wbl2
	s_waitcnt vmcnt(0)
	global_atomic_cmpswap_x2 v[6:7], v47, v[6:9], s[8:9] offset:32 glc
	s_waitcnt vmcnt(0)
	v_cmp_eq_u64_e32 vcc, v[6:7], v[8:9]
	s_or_b64 s[28:29], vcc, s[28:29]
	v_pk_mov_b32 v[8:9], v[6:7], v[6:7] op_sel:[0,1]
	s_andn2_b64 exec, exec, s[28:29]
	s_cbranch_execnz .LBB1_500
.LBB1_501:                              ;   in Loop: Header=BB1_434 Depth=3
	s_or_b64 exec, exec, s[26:27]
	global_load_dwordx2 v[6:7], v47, s[8:9] offset:16
	s_mov_b64 s[28:29], exec
	v_mbcnt_lo_u32_b32 v8, s28, 0
	v_mbcnt_hi_u32_b32 v8, s29, v8
	v_cmp_eq_u32_e32 vcc, 0, v8
	s_and_saveexec_b64 s[26:27], vcc
	s_cbranch_execz .LBB1_503
; %bb.502:                              ;   in Loop: Header=BB1_434 Depth=3
	s_bcnt1_i32_b64 s28, s[28:29]
	v_mov_b32_e32 v46, s28
	buffer_wbl2
	s_waitcnt vmcnt(0)
	global_atomic_add_x2 v[6:7], v[46:47], off offset:8
.LBB1_503:                              ;   in Loop: Header=BB1_434 Depth=3
	s_or_b64 exec, exec, s[26:27]
	s_waitcnt vmcnt(0)
	global_load_dwordx2 v[8:9], v[6:7], off offset:16
	s_waitcnt vmcnt(0)
	v_cmp_eq_u64_e32 vcc, 0, v[8:9]
	s_cbranch_vccnz .LBB1_505
; %bb.504:                              ;   in Loop: Header=BB1_434 Depth=3
	global_load_dword v46, v[6:7], off offset:24
	s_waitcnt vmcnt(0)
	v_and_b32_e32 v6, 0xffffff, v46
	v_readfirstlane_b32 m0, v6
	buffer_wbl2
	global_store_dwordx2 v[8:9], v[46:47], off
	s_sendmsg sendmsg(MSG_INTERRUPT)
.LBB1_505:                              ;   in Loop: Header=BB1_434 Depth=3
	s_or_b64 exec, exec, s[24:25]
	v_add_co_u32_e32 v6, vcc, v24, v31
	v_addc_co_u32_e32 v7, vcc, 0, v5, vcc
	s_branch .LBB1_509
.LBB1_506:                              ;   in Loop: Header=BB1_509 Depth=4
	s_or_b64 exec, exec, s[24:25]
	v_readfirstlane_b32 s24, v5
	s_cmp_eq_u32 s24, 0
	s_cbranch_scc1 .LBB1_508
; %bb.507:                              ;   in Loop: Header=BB1_509 Depth=4
	s_sleep 1
	s_cbranch_execnz .LBB1_509
	s_branch .LBB1_511
.LBB1_508:                              ;   in Loop: Header=BB1_434 Depth=3
	s_branch .LBB1_511
.LBB1_509:                              ;   Parent Loop BB1_13 Depth=1
                                        ;     Parent Loop BB1_227 Depth=2
                                        ;       Parent Loop BB1_434 Depth=3
                                        ; =>      This Inner Loop Header: Depth=4
	v_mov_b32_e32 v5, 1
	s_and_saveexec_b64 s[24:25], s[4:5]
	s_cbranch_execz .LBB1_506
; %bb.510:                              ;   in Loop: Header=BB1_509 Depth=4
	global_load_dword v5, v[2:3], off offset:20 glc
	s_waitcnt vmcnt(0)
	buffer_invl2
	buffer_wbinvl1_vol
	v_and_b32_e32 v5, 1, v5
	s_branch .LBB1_506
.LBB1_511:                              ;   in Loop: Header=BB1_434 Depth=3
	global_load_dwordx4 v[6:9], v[6:7], off
	s_and_saveexec_b64 s[24:25], s[4:5]
	s_cbranch_execz .LBB1_433
; %bb.512:                              ;   in Loop: Header=BB1_434 Depth=3
	global_load_dwordx2 v[2:3], v47, s[8:9] offset:40
	global_load_dwordx2 v[12:13], v47, s[8:9] offset:24 glc
	global_load_dwordx2 v[14:15], v47, s[8:9]
	v_mov_b32_e32 v5, s23
	s_waitcnt vmcnt(2)
	v_add_co_u32_e32 v11, vcc, 1, v2
	v_addc_co_u32_e32 v16, vcc, 0, v3, vcc
	v_add_co_u32_e32 v8, vcc, s22, v11
	v_addc_co_u32_e32 v9, vcc, v16, v5, vcc
	v_cmp_eq_u64_e32 vcc, 0, v[8:9]
	v_cndmask_b32_e32 v9, v9, v16, vcc
	v_cndmask_b32_e32 v8, v8, v11, vcc
	v_and_b32_e32 v3, v9, v3
	v_and_b32_e32 v2, v8, v2
	v_mul_lo_u32 v3, v3, 24
	v_mul_hi_u32 v5, v2, 24
	v_mul_lo_u32 v2, v2, 24
	v_add_u32_e32 v3, v5, v3
	s_waitcnt vmcnt(0)
	v_add_co_u32_e32 v2, vcc, v14, v2
	v_addc_co_u32_e32 v3, vcc, v15, v3, vcc
	v_mov_b32_e32 v10, v12
	global_store_dwordx2 v[2:3], v[12:13], off
	v_mov_b32_e32 v11, v13
	buffer_wbl2
	s_waitcnt vmcnt(0)
	global_atomic_cmpswap_x2 v[10:11], v47, v[8:11], s[8:9] offset:24 glc
	s_waitcnt vmcnt(0)
	v_cmp_ne_u64_e32 vcc, v[10:11], v[12:13]
	s_and_b64 exec, exec, vcc
	s_cbranch_execz .LBB1_433
; %bb.513:                              ;   in Loop: Header=BB1_434 Depth=3
	s_mov_b64 s[4:5], 0
.LBB1_514:                              ;   Parent Loop BB1_13 Depth=1
                                        ;     Parent Loop BB1_227 Depth=2
                                        ;       Parent Loop BB1_434 Depth=3
                                        ; =>      This Inner Loop Header: Depth=4
	s_sleep 1
	global_store_dwordx2 v[2:3], v[10:11], off
	buffer_wbl2
	s_waitcnt vmcnt(0)
	global_atomic_cmpswap_x2 v[12:13], v47, v[8:11], s[8:9] offset:24 glc
	s_waitcnt vmcnt(0)
	v_cmp_eq_u64_e32 vcc, v[12:13], v[10:11]
	s_or_b64 s[4:5], vcc, s[4:5]
	v_pk_mov_b32 v[10:11], v[12:13], v[12:13] op_sel:[0,1]
	s_andn2_b64 exec, exec, s[4:5]
	s_cbranch_execnz .LBB1_514
	s_branch .LBB1_433
.LBB1_515:                              ;   in Loop: Header=BB1_227 Depth=2
	s_branch .LBB1_543
.LBB1_516:                              ;   in Loop: Header=BB1_227 Depth=2
	s_cbranch_execz .LBB1_543
; %bb.517:                              ;   in Loop: Header=BB1_227 Depth=2
	v_readfirstlane_b32 s4, v98
	v_cmp_eq_u32_e64 s[4:5], s4, v98
	v_pk_mov_b32 v[2:3], 0, 0
	s_and_saveexec_b64 s[16:17], s[4:5]
	s_cbranch_execz .LBB1_523
; %bb.518:                              ;   in Loop: Header=BB1_227 Depth=2
	global_load_dwordx2 v[8:9], v47, s[8:9] offset:24 glc
	s_waitcnt vmcnt(0)
	buffer_invl2
	buffer_wbinvl1_vol
	global_load_dwordx2 v[2:3], v47, s[8:9] offset:40
	global_load_dwordx2 v[6:7], v47, s[8:9]
	s_waitcnt vmcnt(1)
	v_and_b32_e32 v2, v2, v8
	v_and_b32_e32 v3, v3, v9
	v_mul_lo_u32 v3, v3, 24
	v_mul_hi_u32 v5, v2, 24
	v_mul_lo_u32 v2, v2, 24
	v_add_u32_e32 v3, v5, v3
	s_waitcnt vmcnt(0)
	v_add_co_u32_e32 v2, vcc, v6, v2
	v_addc_co_u32_e32 v3, vcc, v7, v3, vcc
	global_load_dwordx2 v[6:7], v[2:3], off glc
	s_waitcnt vmcnt(0)
	global_atomic_cmpswap_x2 v[2:3], v47, v[6:9], s[8:9] offset:24 glc
	s_waitcnt vmcnt(0)
	buffer_invl2
	buffer_wbinvl1_vol
	v_cmp_ne_u64_e32 vcc, v[2:3], v[8:9]
	s_and_saveexec_b64 s[18:19], vcc
	s_cbranch_execz .LBB1_522
; %bb.519:                              ;   in Loop: Header=BB1_227 Depth=2
	s_mov_b64 s[20:21], 0
.LBB1_520:                              ;   Parent Loop BB1_13 Depth=1
                                        ;     Parent Loop BB1_227 Depth=2
                                        ; =>    This Inner Loop Header: Depth=3
	s_sleep 1
	global_load_dwordx2 v[6:7], v47, s[8:9] offset:40
	global_load_dwordx2 v[10:11], v47, s[8:9]
	v_pk_mov_b32 v[8:9], v[2:3], v[2:3] op_sel:[0,1]
	s_waitcnt vmcnt(1)
	v_and_b32_e32 v2, v6, v8
	s_waitcnt vmcnt(0)
	v_mad_u64_u32 v[2:3], s[22:23], v2, 24, v[10:11]
	v_and_b32_e32 v5, v7, v9
	v_mov_b32_e32 v6, v3
	v_mad_u64_u32 v[6:7], s[22:23], v5, 24, v[6:7]
	v_mov_b32_e32 v3, v6
	global_load_dwordx2 v[6:7], v[2:3], off glc
	s_waitcnt vmcnt(0)
	global_atomic_cmpswap_x2 v[2:3], v47, v[6:9], s[8:9] offset:24 glc
	s_waitcnt vmcnt(0)
	buffer_invl2
	buffer_wbinvl1_vol
	v_cmp_eq_u64_e32 vcc, v[2:3], v[8:9]
	s_or_b64 s[20:21], vcc, s[20:21]
	s_andn2_b64 exec, exec, s[20:21]
	s_cbranch_execnz .LBB1_520
; %bb.521:                              ;   in Loop: Header=BB1_227 Depth=2
	s_or_b64 exec, exec, s[20:21]
.LBB1_522:                              ;   in Loop: Header=BB1_227 Depth=2
	s_or_b64 exec, exec, s[18:19]
.LBB1_523:                              ;   in Loop: Header=BB1_227 Depth=2
	s_or_b64 exec, exec, s[16:17]
	global_load_dwordx2 v[10:11], v47, s[8:9] offset:40
	global_load_dwordx4 v[6:9], v47, s[8:9]
	v_readfirstlane_b32 s16, v2
	v_readfirstlane_b32 s17, v3
	s_mov_b64 s[18:19], exec
	s_waitcnt vmcnt(1)
	v_readfirstlane_b32 s20, v10
	v_readfirstlane_b32 s21, v11
	s_and_b64 s[20:21], s[16:17], s[20:21]
	s_mul_i32 s22, s21, 24
	s_mul_hi_u32 s23, s20, 24
	s_mul_i32 s24, s20, 24
	s_add_i32 s22, s23, s22
	v_mov_b32_e32 v2, s22
	s_waitcnt vmcnt(0)
	v_add_co_u32_e32 v10, vcc, s24, v6
	v_addc_co_u32_e32 v11, vcc, v7, v2, vcc
	s_and_saveexec_b64 s[22:23], s[4:5]
	s_cbranch_execz .LBB1_525
; %bb.524:                              ;   in Loop: Header=BB1_227 Depth=2
	v_pk_mov_b32 v[56:57], s[18:19], s[18:19] op_sel:[0,1]
	global_store_dwordx4 v[10:11], v[56:59], off offset:8
.LBB1_525:                              ;   in Loop: Header=BB1_227 Depth=2
	s_or_b64 exec, exec, s[22:23]
	s_lshl_b64 s[18:19], s[20:21], 12
	v_mov_b32_e32 v2, s19
	v_add_co_u32_e32 v8, vcc, s18, v8
	v_addc_co_u32_e32 v5, vcc, v9, v2, vcc
	v_and_or_b32 v0, v0, s37, 34
	v_mov_b32_e32 v2, v47
	v_mov_b32_e32 v3, v47
	v_readfirstlane_b32 s18, v8
	v_readfirstlane_b32 s19, v5
	s_mov_b32 s61, s60
	s_mov_b32 s62, s60
	;; [unrolled: 1-line block ×3, first 2 shown]
	s_nop 1
	global_store_dwordx4 v31, v[0:3], s[18:19]
	s_nop 0
	v_pk_mov_b32 v[0:1], s[60:61], s[60:61] op_sel:[0,1]
	v_pk_mov_b32 v[2:3], s[62:63], s[62:63] op_sel:[0,1]
	global_store_dwordx4 v31, v[0:3], s[18:19] offset:16
	global_store_dwordx4 v31, v[0:3], s[18:19] offset:32
	;; [unrolled: 1-line block ×3, first 2 shown]
	s_and_saveexec_b64 s[18:19], s[4:5]
	s_cbranch_execz .LBB1_533
; %bb.526:                              ;   in Loop: Header=BB1_227 Depth=2
	global_load_dwordx2 v[14:15], v47, s[8:9] offset:32 glc
	global_load_dwordx2 v[0:1], v47, s[8:9] offset:40
	v_mov_b32_e32 v12, s16
	v_mov_b32_e32 v13, s17
	s_waitcnt vmcnt(0)
	v_readfirstlane_b32 s20, v0
	v_readfirstlane_b32 s21, v1
	s_and_b64 s[20:21], s[20:21], s[16:17]
	s_mul_i32 s21, s21, 24
	s_mul_hi_u32 s22, s20, 24
	s_mul_i32 s20, s20, 24
	s_add_i32 s21, s22, s21
	v_mov_b32_e32 v0, s21
	v_add_co_u32_e32 v6, vcc, s20, v6
	v_addc_co_u32_e32 v7, vcc, v7, v0, vcc
	global_store_dwordx2 v[6:7], v[14:15], off
	buffer_wbl2
	s_waitcnt vmcnt(0)
	global_atomic_cmpswap_x2 v[2:3], v47, v[12:15], s[8:9] offset:32 glc
	s_waitcnt vmcnt(0)
	v_cmp_ne_u64_e32 vcc, v[2:3], v[14:15]
	s_and_saveexec_b64 s[20:21], vcc
	s_cbranch_execz .LBB1_529
; %bb.527:                              ;   in Loop: Header=BB1_227 Depth=2
	s_mov_b64 s[22:23], 0
.LBB1_528:                              ;   Parent Loop BB1_13 Depth=1
                                        ;     Parent Loop BB1_227 Depth=2
                                        ; =>    This Inner Loop Header: Depth=3
	s_sleep 1
	global_store_dwordx2 v[6:7], v[2:3], off
	v_mov_b32_e32 v0, s16
	v_mov_b32_e32 v1, s17
	buffer_wbl2
	s_waitcnt vmcnt(0)
	global_atomic_cmpswap_x2 v[0:1], v47, v[0:3], s[8:9] offset:32 glc
	s_waitcnt vmcnt(0)
	v_cmp_eq_u64_e32 vcc, v[0:1], v[2:3]
	s_or_b64 s[22:23], vcc, s[22:23]
	v_pk_mov_b32 v[2:3], v[0:1], v[0:1] op_sel:[0,1]
	s_andn2_b64 exec, exec, s[22:23]
	s_cbranch_execnz .LBB1_528
.LBB1_529:                              ;   in Loop: Header=BB1_227 Depth=2
	s_or_b64 exec, exec, s[20:21]
	global_load_dwordx2 v[0:1], v47, s[8:9] offset:16
	s_mov_b64 s[22:23], exec
	v_mbcnt_lo_u32_b32 v2, s22, 0
	v_mbcnt_hi_u32_b32 v2, s23, v2
	v_cmp_eq_u32_e32 vcc, 0, v2
	s_and_saveexec_b64 s[20:21], vcc
	s_cbranch_execz .LBB1_531
; %bb.530:                              ;   in Loop: Header=BB1_227 Depth=2
	s_bcnt1_i32_b64 s22, s[22:23]
	v_mov_b32_e32 v46, s22
	buffer_wbl2
	s_waitcnt vmcnt(0)
	global_atomic_add_x2 v[0:1], v[46:47], off offset:8
.LBB1_531:                              ;   in Loop: Header=BB1_227 Depth=2
	s_or_b64 exec, exec, s[20:21]
	s_waitcnt vmcnt(0)
	global_load_dwordx2 v[2:3], v[0:1], off offset:16
	s_waitcnt vmcnt(0)
	v_cmp_eq_u64_e32 vcc, 0, v[2:3]
	s_cbranch_vccnz .LBB1_533
; %bb.532:                              ;   in Loop: Header=BB1_227 Depth=2
	global_load_dword v46, v[0:1], off offset:24
	s_waitcnt vmcnt(0)
	v_and_b32_e32 v0, 0xffffff, v46
	v_readfirstlane_b32 m0, v0
	buffer_wbl2
	global_store_dwordx2 v[2:3], v[46:47], off
	s_sendmsg sendmsg(MSG_INTERRUPT)
.LBB1_533:                              ;   in Loop: Header=BB1_227 Depth=2
	s_or_b64 exec, exec, s[18:19]
	s_branch .LBB1_537
.LBB1_534:                              ;   in Loop: Header=BB1_537 Depth=3
	s_or_b64 exec, exec, s[18:19]
	v_readfirstlane_b32 s18, v0
	s_cmp_eq_u32 s18, 0
	s_cbranch_scc1 .LBB1_536
; %bb.535:                              ;   in Loop: Header=BB1_537 Depth=3
	s_sleep 1
	s_cbranch_execnz .LBB1_537
	s_branch .LBB1_539
.LBB1_536:                              ;   in Loop: Header=BB1_227 Depth=2
	s_branch .LBB1_539
.LBB1_537:                              ;   Parent Loop BB1_13 Depth=1
                                        ;     Parent Loop BB1_227 Depth=2
                                        ; =>    This Inner Loop Header: Depth=3
	v_mov_b32_e32 v0, 1
	s_and_saveexec_b64 s[18:19], s[4:5]
	s_cbranch_execz .LBB1_534
; %bb.538:                              ;   in Loop: Header=BB1_537 Depth=3
	global_load_dword v0, v[10:11], off offset:20 glc
	s_waitcnt vmcnt(0)
	buffer_invl2
	buffer_wbinvl1_vol
	v_and_b32_e32 v0, 1, v0
	s_branch .LBB1_534
.LBB1_539:                              ;   in Loop: Header=BB1_227 Depth=2
	s_and_b64 exec, exec, s[4:5]
	s_cbranch_execz .LBB1_543
; %bb.540:                              ;   in Loop: Header=BB1_227 Depth=2
	global_load_dwordx2 v[6:7], v47, s[8:9] offset:40
	global_load_dwordx2 v[8:9], v47, s[8:9] offset:24 glc
	global_load_dwordx2 v[10:11], v47, s[8:9]
	v_mov_b32_e32 v1, s17
	s_waitcnt vmcnt(2)
	v_add_co_u32_e32 v3, vcc, 1, v6
	v_addc_co_u32_e32 v5, vcc, 0, v7, vcc
	v_add_co_u32_e32 v0, vcc, s16, v3
	v_addc_co_u32_e32 v1, vcc, v5, v1, vcc
	v_cmp_eq_u64_e32 vcc, 0, v[0:1]
	v_cndmask_b32_e32 v1, v1, v5, vcc
	v_cndmask_b32_e32 v0, v0, v3, vcc
	v_and_b32_e32 v3, v1, v7
	v_and_b32_e32 v5, v0, v6
	v_mul_lo_u32 v3, v3, 24
	v_mul_hi_u32 v6, v5, 24
	v_mul_lo_u32 v5, v5, 24
	v_add_u32_e32 v3, v6, v3
	s_waitcnt vmcnt(0)
	v_add_co_u32_e32 v6, vcc, v10, v5
	v_addc_co_u32_e32 v7, vcc, v11, v3, vcc
	v_mov_b32_e32 v2, v8
	global_store_dwordx2 v[6:7], v[8:9], off
	v_mov_b32_e32 v3, v9
	buffer_wbl2
	s_waitcnt vmcnt(0)
	global_atomic_cmpswap_x2 v[2:3], v47, v[0:3], s[8:9] offset:24 glc
	s_waitcnt vmcnt(0)
	v_cmp_ne_u64_e32 vcc, v[2:3], v[8:9]
	s_and_b64 exec, exec, vcc
	s_cbranch_execz .LBB1_543
; %bb.541:                              ;   in Loop: Header=BB1_227 Depth=2
	s_mov_b64 s[4:5], 0
.LBB1_542:                              ;   Parent Loop BB1_13 Depth=1
                                        ;     Parent Loop BB1_227 Depth=2
                                        ; =>    This Inner Loop Header: Depth=3
	s_sleep 1
	global_store_dwordx2 v[6:7], v[2:3], off
	buffer_wbl2
	s_waitcnt vmcnt(0)
	global_atomic_cmpswap_x2 v[8:9], v47, v[0:3], s[8:9] offset:24 glc
	s_waitcnt vmcnt(0)
	v_cmp_eq_u64_e32 vcc, v[8:9], v[2:3]
	s_or_b64 s[4:5], vcc, s[4:5]
	v_pk_mov_b32 v[2:3], v[8:9], v[8:9] op_sel:[0,1]
	s_andn2_b64 exec, exec, s[4:5]
	s_cbranch_execnz .LBB1_542
.LBB1_543:                              ;   in Loop: Header=BB1_227 Depth=2
	s_or_b64 exec, exec, s[6:7]
	buffer_load_ubyte v0, off, s[0:3], 0
	v_mov_b32_e32 v2, 0x58
	v_cmp_lt_i32_e32 vcc, 0, v30
	global_store_byte v[26:27], v2, off offset:48
	global_store_dword v[26:27], v47, off offset:52
	s_and_saveexec_b64 s[16:17], vcc
	s_cbranch_execz .LBB1_549
; %bb.544:                              ;   in Loop: Header=BB1_227 Depth=2
	v_cmp_lt_u32_e32 vcc, 3, v30
	s_mov_b64 s[4:5], 0
                                        ; implicit-def: $vgpr2
                                        ; implicit-def: $vgpr1
	s_and_saveexec_b64 s[6:7], vcc
	s_xor_b64 s[18:19], exec, s[6:7]
	s_cbranch_execnz .LBB1_557
; %bb.545:                              ;   in Loop: Header=BB1_227 Depth=2
	s_andn2_saveexec_b64 s[6:7], s[18:19]
	s_cbranch_execnz .LBB1_576
.LBB1_546:                              ;   in Loop: Header=BB1_227 Depth=2
	s_or_b64 exec, exec, s[6:7]
	s_and_saveexec_b64 s[6:7], s[4:5]
	s_cbranch_execz .LBB1_548
.LBB1_547:                              ;   in Loop: Header=BB1_227 Depth=2
	s_waitcnt vmcnt(0)
	v_mov_b32_e32 v2, v1
	global_store_byte v[26:27], v1, off offset:48
.LBB1_548:                              ;   in Loop: Header=BB1_227 Depth=2
	s_or_b64 exec, exec, s[6:7]
.LBB1_549:                              ;   in Loop: Header=BB1_227 Depth=2
	s_or_b64 exec, exec, s[16:17]
	s_waitcnt vmcnt(0)
	v_cmp_eq_u16_sdwa s[4:5], v0, v2 src0_sel:BYTE_0 src1_sel:BYTE_0
	v_cmp_ne_u16_sdwa s[8:9], v0, v2 src0_sel:BYTE_0 src1_sel:BYTE_0
	v_mov_b32_e32 v0, 0
	s_and_saveexec_b64 s[6:7], s[8:9]
	s_cbranch_execz .LBB1_555
; %bb.550:                              ;   in Loop: Header=BB1_227 Depth=2
	buffer_load_ubyte v0, off, s[0:3], 0 offset:16
	s_waitcnt vmcnt(0)
	v_cmp_eq_u16_sdwa s[8:9], v0, v2 src0_sel:DWORD src1_sel:BYTE_0
	v_cmp_ne_u16_sdwa s[18:19], v0, v2 src0_sel:DWORD src1_sel:BYTE_0
	v_mov_b32_e32 v0, v91
	s_and_saveexec_b64 s[16:17], s[18:19]
	s_cbranch_execz .LBB1_554
; %bb.551:                              ;   in Loop: Header=BB1_227 Depth=2
	buffer_load_ubyte v0, off, s[0:3], 0 offset:32
	s_waitcnt vmcnt(0)
	v_cmp_eq_u16_sdwa s[18:19], v0, v2 src0_sel:DWORD src1_sel:BYTE_0
	v_cmp_ne_u16_sdwa s[22:23], v0, v2 src0_sel:DWORD src1_sel:BYTE_0
	v_mov_b32_e32 v0, v92
	s_and_saveexec_b64 s[20:21], s[22:23]
	s_cbranch_execz .LBB1_553
; %bb.552:                              ;   in Loop: Header=BB1_227 Depth=2
	buffer_load_ubyte v0, off, s[0:3], 0 offset:48
	s_andn2_b64 s[18:19], s[18:19], exec
	s_waitcnt vmcnt(0)
	v_cmp_eq_u16_sdwa s[22:23], v0, v2 src0_sel:DWORD src1_sel:BYTE_0
	s_and_b64 s[22:23], s[22:23], exec
	s_or_b64 s[18:19], s[18:19], s[22:23]
	v_mov_b32_e32 v0, v93
.LBB1_553:                              ;   in Loop: Header=BB1_227 Depth=2
	s_or_b64 exec, exec, s[20:21]
	s_andn2_b64 s[8:9], s[8:9], exec
	s_and_b64 s[18:19], s[18:19], exec
	s_or_b64 s[8:9], s[8:9], s[18:19]
.LBB1_554:                              ;   in Loop: Header=BB1_227 Depth=2
	s_or_b64 exec, exec, s[16:17]
	s_andn2_b64 s[4:5], s[4:5], exec
	s_and_b64 s[8:9], s[8:9], exec
	s_or_b64 s[4:5], s[4:5], s[8:9]
.LBB1_555:                              ;   in Loop: Header=BB1_227 Depth=2
	s_or_b64 exec, exec, s[6:7]
	s_and_b64 exec, exec, s[4:5]
	s_cbranch_execz .LBB1_226
; %bb.556:                              ;   in Loop: Header=BB1_227 Depth=2
	buffer_load_dword v0, v0, s[0:3], 0 offen offset:8
	s_waitcnt vmcnt(0)
	global_store_dword v[26:27], v0, off offset:52
	s_branch .LBB1_226
.LBB1_557:                              ;   in Loop: Header=BB1_227 Depth=2
	v_cmp_lt_u32_e32 vcc, 5, v30
                                        ; implicit-def: $vgpr2
                                        ; implicit-def: $vgpr1
	s_and_saveexec_b64 s[6:7], vcc
	s_xor_b64 s[20:21], exec, s[6:7]
	s_cbranch_execz .LBB1_573
; %bb.558:                              ;   in Loop: Header=BB1_227 Depth=2
	v_cmp_ne_u32_e32 vcc, 6, v30
                                        ; implicit-def: $sgpr36
                                        ; implicit-def: $vgpr1
	s_and_saveexec_b64 s[6:7], vcc
	s_xor_b64 s[22:23], exec, s[6:7]
	s_cbranch_execz .LBB1_570
; %bb.559:                              ;   in Loop: Header=BB1_227 Depth=2
	v_cmp_gt_i32_e32 vcc, 7, v29
	v_cmp_lt_i32_e64 s[4:5], 6, v29
	s_waitcnt vmcnt(0)
	v_mov_b32_e32 v1, v0
                                        ; implicit-def: $sgpr36
	s_and_saveexec_b64 s[24:25], s[4:5]
	s_cbranch_execz .LBB1_569
; %bb.560:                              ;   in Loop: Header=BB1_227 Depth=2
	buffer_load_dword v1, off, s[0:3], 0 offset:44
                                        ; implicit-def: $sgpr36
	s_waitcnt vmcnt(0)
	v_cmp_eq_u32_e64 s[4:5], 7, v1
	v_cmp_ne_u32_e64 s[6:7], 7, v1
	v_mov_b32_e32 v1, 0x46
	s_and_saveexec_b64 s[26:27], s[6:7]
	s_cbranch_execz .LBB1_568
; %bb.561:                              ;   in Loop: Header=BB1_227 Depth=2
	buffer_load_dword v2, off, s[0:3], 0 offset:8
	buffer_load_dword v3, off, s[0:3], 0 offset:24
	v_mov_b32_e32 v1, 0x46
                                        ; implicit-def: $sgpr36
	s_waitcnt vmcnt(0)
	v_cmp_eq_u32_e64 s[6:7], v2, v3
	v_cmp_ne_u32_e64 s[8:9], v2, v3
	s_and_saveexec_b64 s[28:29], s[8:9]
	s_cbranch_execz .LBB1_567
; %bb.562:                              ;   in Loop: Header=BB1_227 Depth=2
	v_cmp_le_u32_e64 s[8:9], v2, v3
	s_mov_b64 s[34:35], -1
	v_mov_b32_e32 v1, v0
                                        ; implicit-def: $sgpr36
	s_and_saveexec_b64 s[30:31], s[8:9]
	s_cbranch_execz .LBB1_566
; %bb.563:                              ;   in Loop: Header=BB1_227 Depth=2
	v_cmp_gt_u32_e64 s[8:9], v3, v2
	s_mov_b64 s[34:35], 0
	v_mov_b32_e32 v1, v0
	s_and_saveexec_b64 s[62:63], s[8:9]
	s_xor_b64 s[8:9], exec, s[62:63]
	s_cbranch_execz .LBB1_565
; %bb.564:                              ;   in Loop: Header=BB1_227 Depth=2
	buffer_load_ubyte v1, off, s[0:3], 0 offset:16
	s_mov_b64 s[34:35], exec
.LBB1_565:                              ;   in Loop: Header=BB1_227 Depth=2
	s_or_b64 exec, exec, s[8:9]
	s_movk_i32 s36, 0x58
	s_orn2_b64 s[34:35], s[34:35], exec
.LBB1_566:                              ;   in Loop: Header=BB1_227 Depth=2
	s_or_b64 exec, exec, s[30:31]
	s_andn2_b64 s[6:7], s[6:7], exec
	s_and_b64 s[8:9], s[34:35], exec
	s_or_b64 s[6:7], s[6:7], s[8:9]
.LBB1_567:                              ;   in Loop: Header=BB1_227 Depth=2
	s_or_b64 exec, exec, s[28:29]
	s_andn2_b64 s[4:5], s[4:5], exec
	s_and_b64 s[6:7], s[6:7], exec
	s_or_b64 s[4:5], s[4:5], s[6:7]
.LBB1_568:                              ;   in Loop: Header=BB1_227 Depth=2
	s_or_b64 exec, exec, s[26:27]
	s_andn2_b64 s[6:7], vcc, exec
	s_and_b64 s[4:5], s[4:5], exec
	s_or_b64 vcc, s[6:7], s[4:5]
.LBB1_569:                              ;   in Loop: Header=BB1_227 Depth=2
	s_or_b64 exec, exec, s[24:25]
	s_and_b64 s[4:5], vcc, exec
                                        ; implicit-def: $vgpr29
.LBB1_570:                              ;   in Loop: Header=BB1_227 Depth=2
	s_or_saveexec_b64 s[6:7], s[22:23]
	v_mov_b32_e32 v2, s36
	s_xor_b64 exec, exec, s[6:7]
	s_cbranch_execz .LBB1_572
; %bb.571:                              ;   in Loop: Header=BB1_227 Depth=2
	v_cmp_gt_i32_e32 vcc, 4, v29
	s_andn2_b64 s[4:5], s[4:5], exec
	s_and_b64 s[8:9], vcc, exec
	v_mov_b32_e32 v2, 0x58
	s_or_b64 s[4:5], s[4:5], s[8:9]
	s_waitcnt vmcnt(0)
	v_mov_b32_e32 v1, v0
.LBB1_572:                              ;   in Loop: Header=BB1_227 Depth=2
	s_or_b64 exec, exec, s[6:7]
	s_and_b64 s[4:5], s[4:5], exec
                                        ; implicit-def: $vgpr29
.LBB1_573:                              ;   in Loop: Header=BB1_227 Depth=2
	s_andn2_saveexec_b64 s[6:7], s[20:21]
	s_cbranch_execz .LBB1_575
; %bb.574:                              ;   in Loop: Header=BB1_227 Depth=2
	v_cmp_gt_i32_e32 vcc, 3, v29
	s_andn2_b64 s[4:5], s[4:5], exec
	s_and_b64 s[8:9], vcc, exec
	v_mov_b32_e32 v2, 0x58
	s_or_b64 s[4:5], s[4:5], s[8:9]
	s_waitcnt vmcnt(0)
	v_mov_b32_e32 v1, v0
.LBB1_575:                              ;   in Loop: Header=BB1_227 Depth=2
	s_or_b64 exec, exec, s[6:7]
	s_and_b64 s[4:5], s[4:5], exec
                                        ; implicit-def: $vgpr29
	s_andn2_saveexec_b64 s[6:7], s[18:19]
	s_cbranch_execz .LBB1_546
.LBB1_576:                              ;   in Loop: Header=BB1_227 Depth=2
	v_cmp_eq_u32_e32 vcc, 0, v29
	s_andn2_b64 s[4:5], s[4:5], exec
	s_and_b64 s[8:9], vcc, exec
	v_mov_b32_e32 v2, 0x58
	s_or_b64 s[4:5], s[4:5], s[8:9]
	s_waitcnt vmcnt(0)
	v_mov_b32_e32 v1, v0
	s_or_b64 exec, exec, s[6:7]
	s_and_saveexec_b64 s[6:7], s[4:5]
	s_cbranch_execnz .LBB1_547
	s_branch .LBB1_548
.LBB1_577:                              ;   in Loop: Header=BB1_13 Depth=1
	s_or_b64 exec, exec, s[10:11]
	s_and_saveexec_b64 s[4:5], s[46:47]
	s_cbranch_execz .LBB1_580
; %bb.578:                              ;   in Loop: Header=BB1_13 Depth=1
	s_mov_b64 s[6:7], 0
	v_mov_b32_e32 v46, v83
	v_pk_mov_b32 v[0:1], v[72:73], v[72:73] op_sel:[0,1]
.LBB1_579:                              ;   Parent Loop BB1_13 Depth=1
                                        ; =>  This Inner Loop Header: Depth=2
	v_mad_u64_u32 v[2:3], s[8:9], v0, 24, v[66:67]
	v_mov_b32_e32 v0, v3
	v_cmp_le_u64_e32 vcc, s[66:67], v[46:47]
	v_mad_u64_u32 v[6:7], s[8:9], v1, 24, v[0:1]
	s_or_b64 s[6:7], vcc, s[6:7]
	v_pk_mov_b32 v[0:1], v[46:47], v[46:47] op_sel:[0,1]
	v_add_u32_e32 v46, 32, v46
	v_mov_b32_e32 v3, v6
	global_store_dword v[2:3], v96, off offset:8
	s_andn2_b64 exec, exec, s[6:7]
	s_cbranch_execnz .LBB1_579
.LBB1_580:                              ;   in Loop: Header=BB1_13 Depth=1
	s_or_b64 exec, exec, s[4:5]
	s_mov_b64 s[6:7], -1
	s_mov_b64 s[4:5], -1
	s_and_saveexec_b64 s[8:9], s[48:49]
	s_cbranch_execz .LBB1_723
; %bb.581:                              ;   in Loop: Header=BB1_13 Depth=1
	v_sub_u32_e32 v0, v85, v4
	v_ashrrev_i32_e32 v1, 31, v0
	v_add_co_u32_e32 v0, vcc, v64, v0
	v_addc_co_u32_e32 v1, vcc, v65, v1, vcc
	v_max_i32_e32 v2, 1, v4
	s_mov_b64 s[4:5], 0
	s_mov_b64 s[10:11], 0
.LBB1_582:                              ;   Parent Loop BB1_13 Depth=1
                                        ; =>  This Inner Loop Header: Depth=2
	v_mov_b32_e32 v3, s11
	v_add_co_u32_e32 v6, vcc, s10, v0
	v_addc_co_u32_e32 v7, vcc, v1, v3, vcc
	global_load_ubyte v5, v[6:7], off
	v_add_co_u32_e32 v6, vcc, s10, v70
	s_add_u32 s10, s10, 1
	v_addc_co_u32_e32 v7, vcc, v71, v3, vcc
	s_addc_u32 s11, s11, 0
	v_cmp_eq_u32_e32 vcc, s10, v2
	s_or_b64 s[4:5], vcc, s[4:5]
	s_waitcnt vmcnt(0)
	global_store_byte v[6:7], v5, off
	s_andn2_b64 exec, exec, s[4:5]
	s_cbranch_execnz .LBB1_582
; %bb.583:                              ;   in Loop: Header=BB1_13 Depth=1
	s_or_b64 exec, exec, s[4:5]
	s_andn2_b64 vcc, exec, s[76:77]
	s_cbranch_vccnz .LBB1_709
; %bb.584:                              ;   in Loop: Header=BB1_13 Depth=1
	v_xor_b32_e32 v8, 0x3fb0bb5f, v4
	v_add_u32_e32 v9, 4, v4
	s_mov_b32 s28, 0
	s_mov_b64 s[10:11], 0
	v_mov_b32_e32 v5, 0
	v_mov_b32_e32 v10, 0x58
	v_pk_mov_b32 v[2:3], v[70:71], v[70:71] op_sel:[0,1]
	s_branch .LBB1_588
.LBB1_585:                              ;   in Loop: Header=BB1_588 Depth=2
	s_or_b64 exec, exec, s[18:19]
	s_orn2_b64 s[14:15], s[14:15], exec
.LBB1_586:                              ;   in Loop: Header=BB1_588 Depth=2
	s_or_b64 exec, exec, s[4:5]
	s_orn2_b64 s[14:15], s[14:15], exec
.LBB1_587:                              ;   in Loop: Header=BB1_588 Depth=2
	s_or_b64 exec, exec, s[12:13]
	s_add_i32 s28, s28, 1
	s_cmp_eq_u32 s28, s66
	s_cselect_b64 s[4:5], -1, 0
	s_or_b64 s[4:5], s[14:15], s[4:5]
	s_and_b64 s[4:5], exec, s[4:5]
	s_or_b64 s[10:11], s[4:5], s[10:11]
	v_mov_b32_e32 v10, v6
	s_andn2_b64 exec, exec, s[10:11]
	s_cbranch_execz .LBB1_708
.LBB1_588:                              ;   Parent Loop BB1_13 Depth=1
                                        ; =>  This Loop Header: Depth=2
                                        ;       Child Loop BB1_594 Depth 3
                                        ;       Child Loop BB1_613 Depth 3
	;; [unrolled: 1-line block ×3, first 2 shown]
                                        ;         Child Loop BB1_624 Depth 4
                                        ;       Child Loop BB1_638 Depth 3
                                        ;       Child Loop BB1_657 Depth 3
	;; [unrolled: 1-line block ×3, first 2 shown]
                                        ;         Child Loop BB1_668 Depth 4
	v_and_b32_e32 v11, 3, v2
	v_cmp_ne_u32_e32 vcc, 0, v11
                                        ; implicit-def: $vgpr15
	s_and_saveexec_b64 s[4:5], vcc
	s_xor_b64 s[12:13], exec, s[4:5]
	s_cbranch_execz .LBB1_611
; %bb.589:                              ;   in Loop: Header=BB1_588 Depth=2
	v_cmp_gt_i32_e64 s[4:5], 3, v11
	v_mov_b32_e32 v6, 0
	s_and_saveexec_b64 s[14:15], s[4:5]
	s_cbranch_execz .LBB1_593
; %bb.590:                              ;   in Loop: Header=BB1_588 Depth=2
	v_cmp_ne_u32_e64 s[4:5], 2, v11
	v_mov_b32_e32 v0, 0
	s_and_saveexec_b64 s[16:17], s[4:5]
	s_cbranch_execz .LBB1_592
; %bb.591:                              ;   in Loop: Header=BB1_588 Depth=2
	global_load_ubyte v0, v[2:3], off offset:2
	s_waitcnt vmcnt(0)
	v_lshlrev_b32_e32 v0, 16, v0
.LBB1_592:                              ;   in Loop: Header=BB1_588 Depth=2
	s_or_b64 exec, exec, s[16:17]
	global_load_ubyte v1, v[2:3], off offset:1
	s_waitcnt vmcnt(0)
	v_lshl_or_b32 v6, v1, 8, v0
.LBB1_593:                              ;   in Loop: Header=BB1_588 Depth=2
	s_or_b64 exec, exec, s[14:15]
	global_load_ubyte v7, v[2:3], off
	v_sub_u32_e32 v12, 4, v11
	v_lshlrev_b32_e32 v17, 3, v11
	v_add_co_u32_e64 v0, s[4:5], v2, v12
	v_add_u32_e32 v14, v4, v11
	s_mov_b64 s[14:15], 0
	v_addc_co_u32_e64 v1, s[4:5], 0, v3, s[4:5]
	v_lshlrev_b32_e32 v16, 3, v12
	v_mov_b32_e32 v13, v8
	s_waitcnt vmcnt(0)
	v_or_b32_e32 v6, v6, v7
	v_lshlrev_b32_e32 v6, v17, v6
.LBB1_594:                              ;   Parent Loop BB1_13 Depth=1
                                        ;     Parent Loop BB1_588 Depth=2
                                        ; =>    This Inner Loop Header: Depth=3
	global_load_dword v12, v[0:1], off
	v_lshrrev_b32_e32 v6, v17, v6
	v_mul_lo_u32 v7, v13, s96
	v_add_co_u32_e64 v0, s[4:5], 4, v0
	v_addc_co_u32_e64 v1, s[4:5], 0, v1, s[4:5]
	v_add_u32_e32 v14, -4, v14
	v_cmp_gt_u32_e64 s[4:5], 8, v14
	s_or_b64 s[14:15], s[4:5], s[14:15]
	s_waitcnt vmcnt(0)
	v_lshl_or_b32 v13, v12, v16, v6
	v_mul_lo_u32 v13, v13, s96
	v_xor_b32_sdwa v13, v13, v13 dst_sel:DWORD dst_unused:UNUSED_PAD src0_sel:BYTE_3 src1_sel:DWORD
	v_mul_lo_u32 v13, v13, s96
	v_mov_b32_e32 v6, v12
	v_xor_b32_e32 v13, v13, v7
	s_andn2_b64 exec, exec, s[14:15]
	s_cbranch_execnz .LBB1_594
; %bb.595:                              ;   in Loop: Header=BB1_588 Depth=2
	s_or_b64 exec, exec, s[14:15]
	v_add_co_u32_e64 v6, s[4:5], -4, v0
	v_addc_co_u32_e64 v7, s[4:5], -1, v1, s[4:5]
	v_add_u32_e32 v18, -4, v14
	v_cmp_ge_i32_e64 s[4:5], v18, v11
                                        ; implicit-def: $vgpr15
	s_and_saveexec_b64 s[14:15], s[4:5]
	s_xor_b64 s[14:15], exec, s[14:15]
	s_cbranch_execz .LBB1_605
; %bb.596:                              ;   in Loop: Header=BB1_588 Depth=2
	v_cmp_lt_i32_e64 s[4:5], 2, v11
	s_mov_b64 s[16:17], 0
                                        ; implicit-def: $vgpr15
	s_and_saveexec_b64 s[18:19], s[4:5]
	s_xor_b64 s[4:5], exec, s[18:19]
	s_cbranch_execnz .LBB1_684
; %bb.597:                              ;   in Loop: Header=BB1_588 Depth=2
	s_or_saveexec_b64 s[18:19], s[4:5]
                                        ; implicit-def: $sgpr20
	s_xor_b64 exec, exec, s[18:19]
	s_cbranch_execnz .LBB1_685
.LBB1_598:                              ;   in Loop: Header=BB1_588 Depth=2
	s_or_b64 exec, exec, s[18:19]
	v_mov_b32_e32 v19, s20
	s_and_saveexec_b64 s[4:5], s[16:17]
	s_cbranch_execz .LBB1_600
.LBB1_599:                              ;   in Loop: Header=BB1_588 Depth=2
	global_load_ubyte v19, v[6:7], off offset:5
	s_waitcnt vmcnt(0)
	v_lshl_or_b32 v19, v19, 8, v15
.LBB1_600:                              ;   in Loop: Header=BB1_588 Depth=2
	s_or_b64 exec, exec, s[4:5]
	global_load_ubyte v15, v[0:1], off
	v_lshrrev_b32_e32 v20, v17, v12
	v_add_co_u32_e64 v6, s[4:5], v6, v11
	v_mul_lo_u32 v21, v13, s96
	v_addc_co_u32_e64 v7, s[4:5], 0, v7, s[4:5]
	v_sub_u32_e32 v17, v18, v11
	v_cmp_lt_i32_e64 s[4:5], 1, v17
	s_mov_b64 s[16:17], 0
	s_waitcnt vmcnt(0)
	v_or_b32_e32 v15, v19, v15
	v_lshl_or_b32 v15, v15, v16, v20
	v_mul_lo_u32 v15, v15, s96
	v_xor_b32_sdwa v15, v15, v15 dst_sel:DWORD dst_unused:UNUSED_PAD src0_sel:BYTE_3 src1_sel:DWORD
	v_mul_lo_u32 v15, v15, s96
	v_xor_b32_e32 v15, v15, v21
	s_and_saveexec_b64 s[18:19], s[4:5]
	s_xor_b64 s[18:19], exec, s[18:19]
	s_cbranch_execnz .LBB1_686
; %bb.601:                              ;   in Loop: Header=BB1_588 Depth=2
	s_andn2_saveexec_b64 s[18:19], s[18:19]
	s_cbranch_execnz .LBB1_689
.LBB1_602:                              ;   in Loop: Header=BB1_588 Depth=2
	s_or_b64 exec, exec, s[18:19]
	s_and_saveexec_b64 s[4:5], s[16:17]
	s_cbranch_execz .LBB1_604
.LBB1_603:                              ;   in Loop: Header=BB1_588 Depth=2
	global_load_ubyte v6, v[6:7], off offset:4
	s_waitcnt vmcnt(0)
	v_xor_b32_e32 v6, v15, v6
	v_mul_lo_u32 v15, v6, s96
.LBB1_604:                              ;   in Loop: Header=BB1_588 Depth=2
	s_or_b64 exec, exec, s[4:5]
                                        ; implicit-def: $vgpr17
                                        ; implicit-def: $vgpr16
                                        ; implicit-def: $vgpr6_vgpr7
.LBB1_605:                              ;   in Loop: Header=BB1_588 Depth=2
	s_andn2_saveexec_b64 s[14:15], s[14:15]
	s_cbranch_execz .LBB1_674
; %bb.606:                              ;   in Loop: Header=BB1_588 Depth=2
	v_cmp_lt_i32_e64 s[4:5], 5, v14
	s_mov_b64 s[16:17], 0
                                        ; implicit-def: $vgpr15
	s_and_saveexec_b64 s[18:19], s[4:5]
	s_xor_b64 s[4:5], exec, s[18:19]
	s_cbranch_execnz .LBB1_690
; %bb.607:                              ;   in Loop: Header=BB1_588 Depth=2
	s_or_saveexec_b64 s[18:19], s[4:5]
                                        ; implicit-def: $sgpr20
	s_xor_b64 exec, exec, s[18:19]
	s_cbranch_execnz .LBB1_691
.LBB1_608:                              ;   in Loop: Header=BB1_588 Depth=2
	s_or_b64 exec, exec, s[18:19]
	v_mov_b32_e32 v6, s20
	s_and_saveexec_b64 s[4:5], s[16:17]
	s_cbranch_execz .LBB1_610
.LBB1_609:                              ;   in Loop: Header=BB1_588 Depth=2
	global_load_ubyte v0, v[0:1], off
	s_waitcnt vmcnt(0)
	v_or_b32_e32 v6, v15, v0
.LBB1_610:                              ;   in Loop: Header=BB1_588 Depth=2
	s_or_b64 exec, exec, s[4:5]
	v_lshrrev_b32_e32 v0, v17, v12
	v_lshl_or_b32 v0, v6, v16, v0
	v_xor_b32_e32 v0, v0, v13
	v_mul_lo_u32 v15, v0, s96
	s_or_b64 exec, exec, s[14:15]
.LBB1_611:                              ;   in Loop: Header=BB1_588 Depth=2
	s_andn2_saveexec_b64 s[12:13], s[12:13]
	s_cbranch_execz .LBB1_619
.LBB1_612:                              ;   in Loop: Header=BB1_588 Depth=2
	s_mov_b64 s[14:15], 0
	v_mov_b32_e32 v6, v9
	v_pk_mov_b32 v[0:1], v[2:3], v[2:3] op_sel:[0,1]
	v_mov_b32_e32 v15, v8
.LBB1_613:                              ;   Parent Loop BB1_13 Depth=1
                                        ;     Parent Loop BB1_588 Depth=2
                                        ; =>    This Inner Loop Header: Depth=3
	global_load_dword v7, v[0:1], off
	v_add_co_u32_e64 v0, s[4:5], 4, v0
	v_addc_co_u32_e64 v1, s[4:5], 0, v1, s[4:5]
	v_add_u32_e32 v6, -4, v6
	v_mul_lo_u32 v12, v15, s96
	v_cmp_gt_u32_e64 s[4:5], 8, v6
	s_or_b64 s[14:15], s[4:5], s[14:15]
	s_waitcnt vmcnt(0)
	v_mul_lo_u32 v7, v7, s96
	v_xor_b32_sdwa v7, v7, v7 dst_sel:DWORD dst_unused:UNUSED_PAD src0_sel:BYTE_3 src1_sel:DWORD
	v_mul_lo_u32 v7, v7, s96
	v_xor_b32_e32 v15, v7, v12
	s_andn2_b64 exec, exec, s[14:15]
	s_cbranch_execnz .LBB1_613
; %bb.614:                              ;   in Loop: Header=BB1_588 Depth=2
	s_or_b64 exec, exec, s[14:15]
	v_cmp_lt_i32_e64 s[4:5], 5, v6
	s_mov_b64 s[14:15], 0
                                        ; implicit-def: $vgpr7
	s_and_saveexec_b64 s[16:17], s[4:5]
	s_xor_b64 s[16:17], exec, s[16:17]
	s_cbranch_execnz .LBB1_675
; %bb.615:                              ;   in Loop: Header=BB1_588 Depth=2
	s_andn2_saveexec_b64 s[16:17], s[16:17]
	s_cbranch_execnz .LBB1_678
.LBB1_616:                              ;   in Loop: Header=BB1_588 Depth=2
	s_or_b64 exec, exec, s[16:17]
	s_and_saveexec_b64 s[4:5], s[14:15]
	s_cbranch_execz .LBB1_618
.LBB1_617:                              ;   in Loop: Header=BB1_588 Depth=2
	global_load_ubyte v0, v[0:1], off
	s_waitcnt vmcnt(0)
	v_xor_b32_e32 v0, v7, v0
	v_mul_lo_u32 v15, v0, s96
.LBB1_618:                              ;   in Loop: Header=BB1_588 Depth=2
	s_or_b64 exec, exec, s[4:5]
.LBB1_619:                              ;   in Loop: Header=BB1_588 Depth=2
	s_or_b64 exec, exec, s[12:13]
	v_lshrrev_b32_e32 v0, 13, v15
	v_xor_b32_e32 v0, v0, v15
	v_mul_lo_u32 v0, v0, s96
	v_lshrrev_b32_e32 v1, 15, v0
	v_xor_b32_e32 v0, v1, v0
	v_mul_hi_u32 v1, v0, v95
	v_mul_lo_u32 v1, v1, s66
	v_sub_u32_e32 v0, v0, v1
	v_subrev_u32_e32 v1, s66, v0
	v_cmp_le_u32_e64 s[4:5], s66, v0
	v_cndmask_b32_e64 v0, v0, v1, s[4:5]
	v_subrev_u32_e32 v1, s66, v0
	v_cmp_le_u32_e64 s[4:5], s66, v0
	v_cndmask_b32_e64 v12, v0, v1, s[4:5]
	v_mad_u64_u32 v[0:1], s[4:5], v12, 24, v[66:67]
	global_load_dword v13, v[0:1], off offset:8
	v_mov_b32_e32 v6, -1
	s_waitcnt vmcnt(0)
	v_cmp_ne_u32_e64 s[4:5], -1, v13
	s_and_saveexec_b64 s[12:13], s[4:5]
	s_cbranch_execz .LBB1_631
; %bb.620:                              ;   in Loop: Header=BB1_588 Depth=2
	s_mov_b64 s[14:15], 0
	s_branch .LBB1_622
.LBB1_621:                              ;   in Loop: Header=BB1_622 Depth=3
	s_or_b64 exec, exec, s[16:17]
	s_and_b64 s[4:5], exec, s[18:19]
	s_or_b64 s[14:15], s[4:5], s[14:15]
	s_andn2_b64 exec, exec, s[14:15]
	s_cbranch_execz .LBB1_630
.LBB1_622:                              ;   Parent Loop BB1_13 Depth=1
                                        ;     Parent Loop BB1_588 Depth=2
                                        ; =>    This Loop Header: Depth=3
                                        ;         Child Loop BB1_624 Depth 4
	global_load_dwordx2 v[6:7], v[0:1], off
	s_mov_b64 s[18:19], 0
	s_mov_b64 s[24:25], 0
                                        ; implicit-def: $sgpr16_sgpr17
                                        ; implicit-def: $sgpr22_sgpr23
                                        ; implicit-def: $sgpr20_sgpr21
	s_branch .LBB1_624
.LBB1_623:                              ;   in Loop: Header=BB1_624 Depth=4
	s_or_b64 exec, exec, s[26:27]
	s_xor_b64 s[4:5], s[20:21], -1
	s_and_b64 s[26:27], exec, s[22:23]
	s_or_b64 s[18:19], s[26:27], s[18:19]
	s_andn2_b64 s[16:17], s[16:17], exec
	s_and_b64 s[4:5], s[4:5], exec
	s_or_b64 s[16:17], s[16:17], s[4:5]
	s_andn2_b64 exec, exec, s[18:19]
	s_cbranch_execz .LBB1_626
.LBB1_624:                              ;   Parent Loop BB1_13 Depth=1
                                        ;     Parent Loop BB1_588 Depth=2
                                        ;       Parent Loop BB1_622 Depth=3
                                        ; =>      This Inner Loop Header: Depth=4
	v_mov_b32_e32 v16, s25
	s_waitcnt vmcnt(0)
	v_add_co_u32_e64 v14, s[4:5], s24, v6
	v_addc_co_u32_e64 v15, s[4:5], v7, v16, s[4:5]
	flat_load_ubyte v17, v[14:15]
	v_add_co_u32_e64 v14, s[4:5], s24, v2
	v_addc_co_u32_e64 v15, s[4:5], v3, v16, s[4:5]
	global_load_ubyte v14, v[14:15], off
	s_or_b64 s[20:21], s[20:21], exec
	s_or_b64 s[22:23], s[22:23], exec
	s_waitcnt vmcnt(0) lgkmcnt(0)
	v_cmp_eq_u16_e64 s[4:5], v17, v14
	s_and_saveexec_b64 s[26:27], s[4:5]
	s_cbranch_execz .LBB1_623
; %bb.625:                              ;   in Loop: Header=BB1_624 Depth=4
	s_add_u32 s24, s24, 1
	v_cmp_eq_u32_e64 s[4:5], s24, v4
	s_addc_u32 s25, s25, 0
	s_andn2_b64 s[22:23], s[22:23], exec
	s_and_b64 s[4:5], s[4:5], exec
	s_andn2_b64 s[20:21], s[20:21], exec
	s_or_b64 s[22:23], s[22:23], s[4:5]
	s_branch .LBB1_623
.LBB1_626:                              ;   in Loop: Header=BB1_622 Depth=3
	s_or_b64 exec, exec, s[18:19]
	s_mov_b64 s[18:19], -1
	s_mov_b64 s[4:5], -1
	s_and_saveexec_b64 s[20:21], s[16:17]
	s_xor_b64 s[16:17], exec, s[20:21]
; %bb.627:                              ;   in Loop: Header=BB1_622 Depth=3
	v_cmp_ne_u32_e64 s[4:5], v13, v4
	s_orn2_b64 s[4:5], s[4:5], exec
; %bb.628:                              ;   in Loop: Header=BB1_622 Depth=3
	s_or_b64 exec, exec, s[16:17]
	v_mov_b32_e32 v6, v4
                                        ; implicit-def: $vgpr13
	s_and_saveexec_b64 s[16:17], s[4:5]
	s_cbranch_execz .LBB1_621
; %bb.629:                              ;   in Loop: Header=BB1_622 Depth=3
	v_add_u32_e32 v0, 1, v12
	v_cmp_ne_u32_e64 s[4:5], s66, v0
	v_cndmask_b32_e64 v12, 0, v0, s[4:5]
	v_mad_u64_u32 v[0:1], s[4:5], v12, 24, v[66:67]
	global_load_dword v13, v[0:1], off offset:8
	v_mov_b32_e32 v6, -1
	s_waitcnt vmcnt(0)
	v_cmp_eq_u32_e64 s[4:5], -1, v13
	s_orn2_b64 s[18:19], s[4:5], exec
	s_branch .LBB1_621
.LBB1_630:                              ;   in Loop: Header=BB1_588 Depth=2
	s_or_b64 exec, exec, s[14:15]
.LBB1_631:                              ;   in Loop: Header=BB1_588 Depth=2
	s_or_b64 exec, exec, s[12:13]
	v_cmp_eq_u32_e64 s[4:5], -1, v6
	s_mov_b64 s[14:15], -1
	v_mov_b32_e32 v6, 0x52
	s_and_saveexec_b64 s[12:13], s[4:5]
	s_cbranch_execz .LBB1_587
; %bb.632:                              ;   in Loop: Header=BB1_588 Depth=2
	global_store_dwordx3 v[0:1], v[2:4], off
	global_store_byte v[0:1], v59, off offset:16
                                        ; implicit-def: $vgpr15
	s_and_saveexec_b64 s[4:5], vcc
	s_xor_b64 s[4:5], exec, s[4:5]
	s_cbranch_execz .LBB1_655
; %bb.633:                              ;   in Loop: Header=BB1_588 Depth=2
	v_cmp_gt_i32_e32 vcc, 3, v11
	v_mov_b32_e32 v6, 0
	s_and_saveexec_b64 s[14:15], vcc
	s_cbranch_execz .LBB1_637
; %bb.634:                              ;   in Loop: Header=BB1_588 Depth=2
	v_cmp_ne_u32_e32 vcc, 2, v11
	v_mov_b32_e32 v0, 0
	s_and_saveexec_b64 s[16:17], vcc
	s_cbranch_execz .LBB1_636
; %bb.635:                              ;   in Loop: Header=BB1_588 Depth=2
	global_load_ubyte v0, v[2:3], off offset:2
	s_waitcnt vmcnt(0)
	v_lshlrev_b32_e32 v0, 16, v0
.LBB1_636:                              ;   in Loop: Header=BB1_588 Depth=2
	s_or_b64 exec, exec, s[16:17]
	global_load_ubyte v1, v[2:3], off offset:1
	s_waitcnt vmcnt(0)
	v_lshl_or_b32 v6, v1, 8, v0
.LBB1_637:                              ;   in Loop: Header=BB1_588 Depth=2
	s_or_b64 exec, exec, s[14:15]
	global_load_ubyte v7, v[2:3], off
	v_sub_u32_e32 v12, 4, v11
	v_lshlrev_b32_e32 v17, 3, v11
	v_add_co_u32_e32 v0, vcc, v2, v12
	v_add_u32_e32 v14, v4, v11
	s_mov_b64 s[14:15], 0
	v_addc_co_u32_e32 v1, vcc, 0, v3, vcc
	v_lshlrev_b32_e32 v16, 3, v12
	v_mov_b32_e32 v13, v8
	s_waitcnt vmcnt(0)
	v_or_b32_e32 v6, v6, v7
	v_lshlrev_b32_e32 v6, v17, v6
.LBB1_638:                              ;   Parent Loop BB1_13 Depth=1
                                        ;     Parent Loop BB1_588 Depth=2
                                        ; =>    This Inner Loop Header: Depth=3
	global_load_dword v12, v[0:1], off
	v_lshrrev_b32_e32 v6, v17, v6
	v_mul_lo_u32 v7, v13, s96
	v_add_co_u32_e32 v0, vcc, 4, v0
	v_addc_co_u32_e32 v1, vcc, 0, v1, vcc
	v_add_u32_e32 v14, -4, v14
	v_cmp_gt_u32_e32 vcc, 8, v14
	s_or_b64 s[14:15], vcc, s[14:15]
	s_waitcnt vmcnt(0)
	v_lshl_or_b32 v13, v12, v16, v6
	v_mul_lo_u32 v13, v13, s96
	v_xor_b32_sdwa v13, v13, v13 dst_sel:DWORD dst_unused:UNUSED_PAD src0_sel:BYTE_3 src1_sel:DWORD
	v_mul_lo_u32 v13, v13, s96
	v_mov_b32_e32 v6, v12
	v_xor_b32_e32 v13, v13, v7
	s_andn2_b64 exec, exec, s[14:15]
	s_cbranch_execnz .LBB1_638
; %bb.639:                              ;   in Loop: Header=BB1_588 Depth=2
	s_or_b64 exec, exec, s[14:15]
	v_add_co_u32_e32 v6, vcc, -4, v0
	v_addc_co_u32_e32 v7, vcc, -1, v1, vcc
	v_add_u32_e32 v18, -4, v14
	v_cmp_ge_i32_e32 vcc, v18, v11
                                        ; implicit-def: $vgpr15
	s_and_saveexec_b64 s[14:15], vcc
	s_xor_b64 s[14:15], exec, s[14:15]
	s_cbranch_execz .LBB1_649
; %bb.640:                              ;   in Loop: Header=BB1_588 Depth=2
	v_cmp_lt_i32_e32 vcc, 2, v11
	s_mov_b64 s[16:17], 0
                                        ; implicit-def: $vgpr15
	s_and_saveexec_b64 s[18:19], vcc
	s_xor_b64 s[18:19], exec, s[18:19]
	s_cbranch_execnz .LBB1_700
; %bb.641:                              ;   in Loop: Header=BB1_588 Depth=2
	s_or_saveexec_b64 s[18:19], s[18:19]
                                        ; implicit-def: $sgpr20
	s_xor_b64 exec, exec, s[18:19]
	s_cbranch_execnz .LBB1_701
.LBB1_642:                              ;   in Loop: Header=BB1_588 Depth=2
	s_or_b64 exec, exec, s[18:19]
	v_mov_b32_e32 v19, s20
	s_and_saveexec_b64 s[18:19], s[16:17]
	s_cbranch_execz .LBB1_644
.LBB1_643:                              ;   in Loop: Header=BB1_588 Depth=2
	global_load_ubyte v19, v[6:7], off offset:5
	s_waitcnt vmcnt(0)
	v_lshl_or_b32 v19, v19, 8, v15
.LBB1_644:                              ;   in Loop: Header=BB1_588 Depth=2
	s_or_b64 exec, exec, s[18:19]
	global_load_ubyte v15, v[0:1], off
	v_lshrrev_b32_e32 v17, v17, v12
	v_add_co_u32_e32 v6, vcc, v6, v11
	v_mul_lo_u32 v20, v13, s96
	v_addc_co_u32_e32 v7, vcc, 0, v7, vcc
	v_sub_u32_e32 v11, v18, v11
	v_cmp_lt_i32_e32 vcc, 1, v11
	s_mov_b64 s[16:17], 0
	s_waitcnt vmcnt(0)
	v_or_b32_e32 v15, v19, v15
	v_lshl_or_b32 v15, v15, v16, v17
	v_mul_lo_u32 v15, v15, s96
	v_xor_b32_sdwa v15, v15, v15 dst_sel:DWORD dst_unused:UNUSED_PAD src0_sel:BYTE_3 src1_sel:DWORD
	v_mul_lo_u32 v15, v15, s96
	v_xor_b32_e32 v15, v15, v20
	s_and_saveexec_b64 s[18:19], vcc
	s_xor_b64 s[18:19], exec, s[18:19]
	s_cbranch_execnz .LBB1_702
; %bb.645:                              ;   in Loop: Header=BB1_588 Depth=2
	s_andn2_saveexec_b64 s[18:19], s[18:19]
	s_cbranch_execnz .LBB1_705
.LBB1_646:                              ;   in Loop: Header=BB1_588 Depth=2
	s_or_b64 exec, exec, s[18:19]
	s_and_saveexec_b64 s[18:19], s[16:17]
	s_cbranch_execz .LBB1_648
.LBB1_647:                              ;   in Loop: Header=BB1_588 Depth=2
	global_load_ubyte v6, v[6:7], off offset:4
	s_waitcnt vmcnt(0)
	v_xor_b32_e32 v6, v15, v6
	v_mul_lo_u32 v15, v6, s96
.LBB1_648:                              ;   in Loop: Header=BB1_588 Depth=2
	s_or_b64 exec, exec, s[18:19]
                                        ; implicit-def: $vgpr17
                                        ; implicit-def: $vgpr16
                                        ; implicit-def: $vgpr6_vgpr7
.LBB1_649:                              ;   in Loop: Header=BB1_588 Depth=2
	s_andn2_saveexec_b64 s[14:15], s[14:15]
	s_cbranch_execz .LBB1_692
; %bb.650:                              ;   in Loop: Header=BB1_588 Depth=2
	v_cmp_lt_i32_e32 vcc, 5, v14
	s_mov_b64 s[16:17], 0
                                        ; implicit-def: $vgpr11
	s_and_saveexec_b64 s[18:19], vcc
	s_xor_b64 s[18:19], exec, s[18:19]
	s_cbranch_execnz .LBB1_706
; %bb.651:                              ;   in Loop: Header=BB1_588 Depth=2
	s_or_saveexec_b64 s[18:19], s[18:19]
                                        ; implicit-def: $sgpr20
	s_xor_b64 exec, exec, s[18:19]
	s_cbranch_execnz .LBB1_707
.LBB1_652:                              ;   in Loop: Header=BB1_588 Depth=2
	s_or_b64 exec, exec, s[18:19]
	v_mov_b32_e32 v6, s20
	s_and_saveexec_b64 s[18:19], s[16:17]
	s_cbranch_execz .LBB1_654
.LBB1_653:                              ;   in Loop: Header=BB1_588 Depth=2
	global_load_ubyte v0, v[0:1], off
	s_waitcnt vmcnt(0)
	v_or_b32_e32 v6, v11, v0
.LBB1_654:                              ;   in Loop: Header=BB1_588 Depth=2
	s_or_b64 exec, exec, s[18:19]
	v_lshrrev_b32_e32 v0, v17, v12
	v_lshl_or_b32 v0, v6, v16, v0
	v_xor_b32_e32 v0, v0, v13
	v_mul_lo_u32 v15, v0, s96
	s_or_b64 exec, exec, s[14:15]
.LBB1_655:                              ;   in Loop: Header=BB1_588 Depth=2
	s_andn2_saveexec_b64 s[4:5], s[4:5]
	s_cbranch_execz .LBB1_663
.LBB1_656:                              ;   in Loop: Header=BB1_588 Depth=2
	s_mov_b64 s[14:15], 0
	v_mov_b32_e32 v6, v9
	v_pk_mov_b32 v[0:1], v[2:3], v[2:3] op_sel:[0,1]
	v_mov_b32_e32 v15, v8
.LBB1_657:                              ;   Parent Loop BB1_13 Depth=1
                                        ;     Parent Loop BB1_588 Depth=2
                                        ; =>    This Inner Loop Header: Depth=3
	global_load_dword v7, v[0:1], off
	v_add_co_u32_e32 v0, vcc, 4, v0
	v_addc_co_u32_e32 v1, vcc, 0, v1, vcc
	v_add_u32_e32 v6, -4, v6
	v_mul_lo_u32 v11, v15, s96
	v_cmp_gt_u32_e32 vcc, 8, v6
	s_or_b64 s[14:15], vcc, s[14:15]
	s_waitcnt vmcnt(0)
	v_mul_lo_u32 v7, v7, s96
	v_xor_b32_sdwa v7, v7, v7 dst_sel:DWORD dst_unused:UNUSED_PAD src0_sel:BYTE_3 src1_sel:DWORD
	v_mul_lo_u32 v7, v7, s96
	v_xor_b32_e32 v15, v7, v11
	s_andn2_b64 exec, exec, s[14:15]
	s_cbranch_execnz .LBB1_657
; %bb.658:                              ;   in Loop: Header=BB1_588 Depth=2
	s_or_b64 exec, exec, s[14:15]
	v_cmp_lt_i32_e32 vcc, 5, v6
	s_mov_b64 s[14:15], 0
                                        ; implicit-def: $vgpr7
	s_and_saveexec_b64 s[16:17], vcc
	s_xor_b64 s[16:17], exec, s[16:17]
	s_cbranch_execnz .LBB1_693
; %bb.659:                              ;   in Loop: Header=BB1_588 Depth=2
	s_andn2_saveexec_b64 s[16:17], s[16:17]
	s_cbranch_execnz .LBB1_696
.LBB1_660:                              ;   in Loop: Header=BB1_588 Depth=2
	s_or_b64 exec, exec, s[16:17]
	s_and_saveexec_b64 s[16:17], s[14:15]
	s_cbranch_execz .LBB1_662
.LBB1_661:                              ;   in Loop: Header=BB1_588 Depth=2
	global_load_ubyte v0, v[0:1], off
	s_waitcnt vmcnt(0)
	v_xor_b32_e32 v0, v7, v0
	v_mul_lo_u32 v15, v0, s96
.LBB1_662:                              ;   in Loop: Header=BB1_588 Depth=2
	s_or_b64 exec, exec, s[16:17]
.LBB1_663:                              ;   in Loop: Header=BB1_588 Depth=2
	s_or_b64 exec, exec, s[4:5]
	v_lshrrev_b32_e32 v0, 13, v15
	v_xor_b32_e32 v0, v0, v15
	v_mul_lo_u32 v0, v0, s96
	v_lshrrev_b32_e32 v1, 15, v0
	v_xor_b32_e32 v0, v1, v0
	v_mul_hi_u32 v1, v0, v84
	v_mul_lo_u32 v1, v1, v41
	v_sub_u32_e32 v0, v0, v1
	v_sub_u32_e32 v1, v0, v41
	v_cmp_ge_u32_e32 vcc, v0, v41
	v_cndmask_b32_e32 v0, v0, v1, vcc
	v_sub_u32_e32 v1, v0, v41
	v_cmp_ge_u32_e32 vcc, v0, v41
	v_cndmask_b32_e32 v11, v0, v1, vcc
	v_mad_u64_u32 v[0:1], s[4:5], v11, 56, v[42:43]
	global_load_dword v12, v[0:1], off offset:8
	v_mov_b32_e32 v6, -1
	s_waitcnt vmcnt(0)
	v_cmp_ne_u32_e32 vcc, -1, v12
	s_and_saveexec_b64 s[4:5], vcc
	s_cbranch_execz .LBB1_680
; %bb.664:                              ;   in Loop: Header=BB1_588 Depth=2
	s_mov_b64 s[14:15], 0
	s_branch .LBB1_666
.LBB1_665:                              ;   in Loop: Header=BB1_666 Depth=3
	s_or_b64 exec, exec, s[16:17]
	s_and_b64 s[16:17], exec, s[18:19]
	s_or_b64 s[14:15], s[16:17], s[14:15]
	s_andn2_b64 exec, exec, s[14:15]
	s_cbranch_execz .LBB1_679
.LBB1_666:                              ;   Parent Loop BB1_13 Depth=1
                                        ;     Parent Loop BB1_588 Depth=2
                                        ; =>    This Loop Header: Depth=3
                                        ;         Child Loop BB1_668 Depth 4
	global_load_dwordx2 v[6:7], v[0:1], off
	s_mov_b64 s[18:19], 0
	s_mov_b64 s[24:25], 0
                                        ; implicit-def: $sgpr16_sgpr17
                                        ; implicit-def: $sgpr22_sgpr23
                                        ; implicit-def: $sgpr20_sgpr21
	s_branch .LBB1_668
.LBB1_667:                              ;   in Loop: Header=BB1_668 Depth=4
	s_or_b64 exec, exec, s[26:27]
	s_xor_b64 s[26:27], s[20:21], -1
	s_and_b64 s[30:31], exec, s[22:23]
	s_or_b64 s[18:19], s[30:31], s[18:19]
	s_andn2_b64 s[16:17], s[16:17], exec
	s_and_b64 s[26:27], s[26:27], exec
	s_or_b64 s[16:17], s[16:17], s[26:27]
	s_andn2_b64 exec, exec, s[18:19]
	s_cbranch_execz .LBB1_670
.LBB1_668:                              ;   Parent Loop BB1_13 Depth=1
                                        ;     Parent Loop BB1_588 Depth=2
                                        ;       Parent Loop BB1_666 Depth=3
                                        ; =>      This Inner Loop Header: Depth=4
	v_mov_b32_e32 v13, s25
	s_waitcnt vmcnt(0)
	v_add_co_u32_e32 v14, vcc, s24, v6
	v_addc_co_u32_e32 v15, vcc, v7, v13, vcc
	flat_load_ubyte v16, v[14:15]
	v_add_co_u32_e32 v14, vcc, s24, v2
	v_addc_co_u32_e32 v15, vcc, v3, v13, vcc
	global_load_ubyte v13, v[14:15], off
	s_or_b64 s[20:21], s[20:21], exec
	s_or_b64 s[22:23], s[22:23], exec
	s_waitcnt vmcnt(0) lgkmcnt(0)
	v_cmp_eq_u16_e32 vcc, v16, v13
	s_and_saveexec_b64 s[26:27], vcc
	s_cbranch_execz .LBB1_667
; %bb.669:                              ;   in Loop: Header=BB1_668 Depth=4
	s_add_u32 s24, s24, 1
	v_cmp_eq_u32_e32 vcc, s24, v4
	s_addc_u32 s25, s25, 0
	s_andn2_b64 s[22:23], s[22:23], exec
	s_and_b64 s[30:31], vcc, exec
	s_andn2_b64 s[20:21], s[20:21], exec
	s_or_b64 s[22:23], s[22:23], s[30:31]
	s_branch .LBB1_667
.LBB1_670:                              ;   in Loop: Header=BB1_666 Depth=3
	s_or_b64 exec, exec, s[18:19]
	s_mov_b64 s[18:19], -1
	s_mov_b64 s[20:21], -1
	s_and_saveexec_b64 s[22:23], s[16:17]
	s_xor_b64 s[16:17], exec, s[22:23]
; %bb.671:                              ;   in Loop: Header=BB1_666 Depth=3
	v_cmp_ne_u32_e32 vcc, v12, v4
	s_orn2_b64 s[20:21], vcc, exec
; %bb.672:                              ;   in Loop: Header=BB1_666 Depth=3
	s_or_b64 exec, exec, s[16:17]
	v_mov_b32_e32 v6, v4
                                        ; implicit-def: $vgpr12
	s_and_saveexec_b64 s[16:17], s[20:21]
	s_cbranch_execz .LBB1_665
; %bb.673:                              ;   in Loop: Header=BB1_666 Depth=3
	v_add_u32_e32 v0, 1, v11
	v_cmp_ne_u32_e32 vcc, v0, v41
	v_cndmask_b32_e32 v11, 0, v0, vcc
	v_mad_u64_u32 v[0:1], s[18:19], v11, 56, v[42:43]
	global_load_dword v12, v[0:1], off offset:8
	v_mov_b32_e32 v6, -1
	s_waitcnt vmcnt(0)
	v_cmp_eq_u32_e32 vcc, -1, v12
	s_orn2_b64 s[18:19], vcc, exec
	s_branch .LBB1_665
.LBB1_674:                              ;   in Loop: Header=BB1_588 Depth=2
	s_or_b64 exec, exec, s[14:15]
	s_andn2_saveexec_b64 s[12:13], s[12:13]
	s_cbranch_execnz .LBB1_612
	s_branch .LBB1_619
.LBB1_675:                              ;   in Loop: Header=BB1_588 Depth=2
	v_cmp_lt_i32_e64 s[4:5], 6, v6
	v_mov_b32_e32 v7, v15
	s_and_saveexec_b64 s[14:15], s[4:5]
	s_cbranch_execz .LBB1_677
; %bb.676:                              ;   in Loop: Header=BB1_588 Depth=2
	global_load_ubyte v7, v[0:1], off offset:2
	s_waitcnt vmcnt(0)
	v_lshlrev_b32_e32 v7, 16, v7
	v_xor_b32_e32 v7, v7, v15
.LBB1_677:                              ;   in Loop: Header=BB1_588 Depth=2
	s_or_b64 exec, exec, s[14:15]
	global_load_ubyte v12, v[0:1], off offset:1
	s_mov_b64 s[14:15], exec
	s_waitcnt vmcnt(0)
	v_lshlrev_b32_e32 v12, 8, v12
	v_xor_b32_e32 v7, v12, v7
	s_andn2_saveexec_b64 s[16:17], s[16:17]
	s_cbranch_execz .LBB1_616
.LBB1_678:                              ;   in Loop: Header=BB1_588 Depth=2
	v_cmp_eq_u32_e64 s[4:5], 5, v6
	s_andn2_b64 s[14:15], s[14:15], exec
	s_and_b64 s[4:5], s[4:5], exec
	s_or_b64 s[14:15], s[14:15], s[4:5]
	v_mov_b32_e32 v7, v15
	s_or_b64 exec, exec, s[16:17]
	s_and_saveexec_b64 s[4:5], s[14:15]
	s_cbranch_execnz .LBB1_617
	s_branch .LBB1_618
.LBB1_679:                              ;   in Loop: Header=BB1_588 Depth=2
	s_or_b64 exec, exec, s[14:15]
.LBB1_680:                              ;   in Loop: Header=BB1_588 Depth=2
	s_or_b64 exec, exec, s[4:5]
	v_cmp_ne_u32_e32 vcc, -1, v6
	s_mov_b64 s[14:15], -1
	v_mov_b32_e32 v6, 0x58
	s_and_saveexec_b64 s[4:5], vcc
	s_cbranch_execz .LBB1_586
; %bb.681:                              ;   in Loop: Header=BB1_588 Depth=2
	global_load_ubyte v6, v[0:1], off offset:48
	s_mov_b64 s[16:17], 0
                                        ; implicit-def: $sgpr14_sgpr15
	s_waitcnt vmcnt(0)
	v_cmp_lt_i16_e32 vcc, s97, v6
	s_and_saveexec_b64 s[18:19], vcc
	s_xor_b64 s[18:19], exec, s[18:19]
	s_cbranch_execnz .LBB1_697
; %bb.682:                              ;   in Loop: Header=BB1_588 Depth=2
	s_andn2_saveexec_b64 s[18:19], s[18:19]
	s_cbranch_execnz .LBB1_698
.LBB1_683:                              ;   in Loop: Header=BB1_588 Depth=2
	s_or_b64 exec, exec, s[18:19]
	s_and_saveexec_b64 s[18:19], s[16:17]
	s_cbranch_execz .LBB1_585
	s_branch .LBB1_699
.LBB1_684:                              ;   in Loop: Header=BB1_588 Depth=2
	global_load_ubyte v15, v[6:7], off offset:6
	s_mov_b64 s[16:17], exec
	s_waitcnt vmcnt(0)
	v_lshlrev_b32_e32 v15, 16, v15
	s_or_saveexec_b64 s[18:19], s[4:5]
                                        ; implicit-def: $sgpr20
	s_xor_b64 exec, exec, s[18:19]
	s_cbranch_execz .LBB1_598
.LBB1_685:                              ;   in Loop: Header=BB1_588 Depth=2
	v_cmp_eq_u32_e64 s[4:5], 2, v11
	s_andn2_b64 s[16:17], s[16:17], exec
	s_and_b64 s[4:5], s[4:5], exec
	s_mov_b32 s20, 0
	v_mov_b32_e32 v15, 0
	s_or_b64 s[16:17], s[16:17], s[4:5]
	s_or_b64 exec, exec, s[18:19]
	v_mov_b32_e32 v19, s20
	s_and_saveexec_b64 s[4:5], s[16:17]
	s_cbranch_execnz .LBB1_599
	s_branch .LBB1_600
.LBB1_686:                              ;   in Loop: Header=BB1_588 Depth=2
	v_cmp_eq_u32_e64 s[4:5], 2, v17
	s_and_saveexec_b64 s[20:21], s[4:5]
	s_cbranch_execz .LBB1_688
; %bb.687:                              ;   in Loop: Header=BB1_588 Depth=2
	global_load_ubyte v16, v[6:7], off offset:5
	s_mov_b64 s[16:17], exec
	s_waitcnt vmcnt(0)
	v_lshlrev_b32_e32 v16, 8, v16
	v_xor_b32_e32 v15, v16, v15
.LBB1_688:                              ;   in Loop: Header=BB1_588 Depth=2
	s_or_b64 exec, exec, s[20:21]
	s_and_b64 s[16:17], s[16:17], exec
                                        ; implicit-def: $vgpr17
	s_andn2_saveexec_b64 s[18:19], s[18:19]
	s_cbranch_execz .LBB1_602
.LBB1_689:                              ;   in Loop: Header=BB1_588 Depth=2
	v_cmp_eq_u32_e64 s[4:5], 1, v17
	s_andn2_b64 s[16:17], s[16:17], exec
	s_and_b64 s[4:5], s[4:5], exec
	s_or_b64 s[16:17], s[16:17], s[4:5]
	s_or_b64 exec, exec, s[18:19]
	s_and_saveexec_b64 s[4:5], s[16:17]
	s_cbranch_execnz .LBB1_603
	s_branch .LBB1_604
.LBB1_690:                              ;   in Loop: Header=BB1_588 Depth=2
	global_load_ubyte v6, v[6:7], off offset:5
	s_mov_b64 s[16:17], exec
	s_waitcnt vmcnt(0)
	v_lshlrev_b32_e32 v15, 8, v6
	s_or_saveexec_b64 s[18:19], s[4:5]
                                        ; implicit-def: $sgpr20
	s_xor_b64 exec, exec, s[18:19]
	s_cbranch_execz .LBB1_608
.LBB1_691:                              ;   in Loop: Header=BB1_588 Depth=2
	v_cmp_eq_u32_e64 s[4:5], 5, v14
	s_andn2_b64 s[16:17], s[16:17], exec
	s_and_b64 s[4:5], s[4:5], exec
	s_mov_b32 s20, 0
	v_mov_b32_e32 v15, 0
	s_or_b64 s[16:17], s[16:17], s[4:5]
	s_or_b64 exec, exec, s[18:19]
	v_mov_b32_e32 v6, s20
	s_and_saveexec_b64 s[4:5], s[16:17]
	s_cbranch_execnz .LBB1_609
	s_branch .LBB1_610
.LBB1_692:                              ;   in Loop: Header=BB1_588 Depth=2
	s_or_b64 exec, exec, s[14:15]
	s_andn2_saveexec_b64 s[4:5], s[4:5]
	s_cbranch_execnz .LBB1_656
	s_branch .LBB1_663
.LBB1_693:                              ;   in Loop: Header=BB1_588 Depth=2
	v_cmp_lt_i32_e32 vcc, 6, v6
	v_mov_b32_e32 v7, v15
	s_and_saveexec_b64 s[14:15], vcc
	s_cbranch_execz .LBB1_695
; %bb.694:                              ;   in Loop: Header=BB1_588 Depth=2
	global_load_ubyte v7, v[0:1], off offset:2
	s_waitcnt vmcnt(0)
	v_lshlrev_b32_e32 v7, 16, v7
	v_xor_b32_e32 v7, v7, v15
.LBB1_695:                              ;   in Loop: Header=BB1_588 Depth=2
	s_or_b64 exec, exec, s[14:15]
	global_load_ubyte v11, v[0:1], off offset:1
	s_mov_b64 s[14:15], exec
	s_waitcnt vmcnt(0)
	v_lshlrev_b32_e32 v11, 8, v11
	v_xor_b32_e32 v7, v11, v7
	s_andn2_saveexec_b64 s[16:17], s[16:17]
	s_cbranch_execz .LBB1_660
.LBB1_696:                              ;   in Loop: Header=BB1_588 Depth=2
	v_cmp_eq_u32_e32 vcc, 5, v6
	s_andn2_b64 s[14:15], s[14:15], exec
	s_and_b64 s[18:19], vcc, exec
	s_or_b64 s[14:15], s[14:15], s[18:19]
	v_mov_b32_e32 v7, v15
	s_or_b64 exec, exec, s[16:17]
	s_and_saveexec_b64 s[16:17], s[14:15]
	s_cbranch_execnz .LBB1_661
	s_branch .LBB1_662
.LBB1_697:                              ;   in Loop: Header=BB1_588 Depth=2
	v_cmp_ne_u16_e32 vcc, s98, v6
	s_mov_b64 s[14:15], -1
	s_and_b64 s[16:17], vcc, exec
	s_andn2_saveexec_b64 s[18:19], s[18:19]
	s_cbranch_execz .LBB1_683
.LBB1_698:                              ;   in Loop: Header=BB1_588 Depth=2
	v_cmp_ne_u16_e32 vcc, s89, v6
	s_andn2_b64 s[16:17], s[16:17], exec
	s_and_b64 s[20:21], vcc, exec
	s_or_b64 s[14:15], s[14:15], exec
	s_or_b64 s[16:17], s[16:17], s[20:21]
	s_or_b64 exec, exec, s[18:19]
	s_and_saveexec_b64 s[18:19], s[16:17]
	s_cbranch_execz .LBB1_585
.LBB1_699:                              ;   in Loop: Header=BB1_588 Depth=2
	v_add_co_u32_e32 v0, vcc, 1, v2
	v_addc_co_u32_e32 v1, vcc, 0, v3, vcc
	v_add_co_u32_e32 v2, vcc, v2, v4
	v_addc_co_u32_e32 v3, vcc, 0, v3, vcc
	v_cmp_ne_u16_e32 vcc, 0, v6
	global_store_byte v[2:3], v6, off
	v_addc_co_u32_e32 v5, vcc, 0, v5, vcc
	s_andn2_b64 s[14:15], s[14:15], exec
	v_mov_b32_e32 v6, v10
	v_pk_mov_b32 v[2:3], v[0:1], v[0:1] op_sel:[0,1]
	s_branch .LBB1_585
.LBB1_700:                              ;   in Loop: Header=BB1_588 Depth=2
	global_load_ubyte v15, v[6:7], off offset:6
	s_mov_b64 s[16:17], exec
	s_waitcnt vmcnt(0)
	v_lshlrev_b32_e32 v15, 16, v15
	s_or_saveexec_b64 s[18:19], s[18:19]
                                        ; implicit-def: $sgpr20
	s_xor_b64 exec, exec, s[18:19]
	s_cbranch_execz .LBB1_642
.LBB1_701:                              ;   in Loop: Header=BB1_588 Depth=2
	v_cmp_eq_u32_e32 vcc, 2, v11
	s_andn2_b64 s[16:17], s[16:17], exec
	s_and_b64 s[22:23], vcc, exec
	s_mov_b32 s20, 0
	v_mov_b32_e32 v15, 0
	s_or_b64 s[16:17], s[16:17], s[22:23]
	s_or_b64 exec, exec, s[18:19]
	v_mov_b32_e32 v19, s20
	s_and_saveexec_b64 s[18:19], s[16:17]
	s_cbranch_execnz .LBB1_643
	s_branch .LBB1_644
.LBB1_702:                              ;   in Loop: Header=BB1_588 Depth=2
	v_cmp_eq_u32_e32 vcc, 2, v11
	s_and_saveexec_b64 s[20:21], vcc
	s_cbranch_execz .LBB1_704
; %bb.703:                              ;   in Loop: Header=BB1_588 Depth=2
	global_load_ubyte v11, v[6:7], off offset:5
	s_mov_b64 s[16:17], exec
	s_waitcnt vmcnt(0)
	v_lshlrev_b32_e32 v11, 8, v11
	v_xor_b32_e32 v15, v11, v15
.LBB1_704:                              ;   in Loop: Header=BB1_588 Depth=2
	s_or_b64 exec, exec, s[20:21]
	s_and_b64 s[16:17], s[16:17], exec
                                        ; implicit-def: $vgpr11
	s_andn2_saveexec_b64 s[18:19], s[18:19]
	s_cbranch_execz .LBB1_646
.LBB1_705:                              ;   in Loop: Header=BB1_588 Depth=2
	v_cmp_eq_u32_e32 vcc, 1, v11
	s_andn2_b64 s[16:17], s[16:17], exec
	s_and_b64 s[20:21], vcc, exec
	s_or_b64 s[16:17], s[16:17], s[20:21]
	s_or_b64 exec, exec, s[18:19]
	s_and_saveexec_b64 s[18:19], s[16:17]
	s_cbranch_execnz .LBB1_647
	s_branch .LBB1_648
.LBB1_706:                              ;   in Loop: Header=BB1_588 Depth=2
	global_load_ubyte v6, v[6:7], off offset:5
	s_mov_b64 s[16:17], exec
	s_waitcnt vmcnt(0)
	v_lshlrev_b32_e32 v11, 8, v6
	s_or_saveexec_b64 s[18:19], s[18:19]
                                        ; implicit-def: $sgpr20
	s_xor_b64 exec, exec, s[18:19]
	s_cbranch_execz .LBB1_652
.LBB1_707:                              ;   in Loop: Header=BB1_588 Depth=2
	v_cmp_eq_u32_e32 vcc, 5, v14
	s_andn2_b64 s[16:17], s[16:17], exec
	s_and_b64 s[22:23], vcc, exec
	s_mov_b32 s20, 0
	v_mov_b32_e32 v11, 0
	s_or_b64 s[16:17], s[16:17], s[22:23]
	s_or_b64 exec, exec, s[18:19]
	v_mov_b32_e32 v6, s20
	s_and_saveexec_b64 s[18:19], s[16:17]
	s_cbranch_execnz .LBB1_653
	s_branch .LBB1_654
.LBB1_708:                              ;   in Loop: Header=BB1_13 Depth=1
	s_or_b64 exec, exec, s[10:11]
	v_cmp_gt_i32_e32 vcc, v5, v103
	s_and_saveexec_b64 s[4:5], vcc
	s_cbranch_execnz .LBB1_710
	s_branch .LBB1_714
.LBB1_709:                              ;   in Loop: Header=BB1_13 Depth=1
	v_mov_b32_e32 v6, 0x58
	v_mov_b32_e32 v5, 0
	v_cmp_gt_i32_e32 vcc, v5, v103
	s_and_saveexec_b64 s[4:5], vcc
	s_cbranch_execz .LBB1_714
.LBB1_710:                              ;   in Loop: Header=BB1_13 Depth=1
	v_cmp_lt_i32_e32 vcc, 0, v5
	s_and_saveexec_b64 s[10:11], vcc
	s_cbranch_execz .LBB1_713
; %bb.711:                              ;   in Loop: Header=BB1_13 Depth=1
	v_add_co_u32_e32 v0, vcc, v70, v4
	v_addc_co_u32_e32 v1, vcc, 0, v71, vcc
	s_mov_b64 s[12:13], 0
	s_mov_b64 s[14:15], 0
.LBB1_712:                              ;   Parent Loop BB1_13 Depth=1
                                        ; =>  This Inner Loop Header: Depth=2
	v_mov_b32_e32 v7, s15
	v_add_co_u32_e32 v2, vcc, s14, v0
	v_addc_co_u32_e32 v3, vcc, v1, v7, vcc
	global_load_ubyte v8, v[2:3], off
	v_add_co_u32_e32 v2, vcc, s14, v68
	s_add_u32 s14, s14, 1
	v_addc_co_u32_e32 v3, vcc, v69, v7, vcc
	s_addc_u32 s15, s15, 0
	v_cmp_eq_u32_e32 vcc, s14, v5
	s_or_b64 s[12:13], vcc, s[12:13]
	s_waitcnt vmcnt(0)
	global_store_byte v[2:3], v8, off
	s_andn2_b64 exec, exec, s[12:13]
	s_cbranch_execnz .LBB1_712
.LBB1_713:                              ;   in Loop: Header=BB1_13 Depth=1
	s_or_b64 exec, exec, s[10:11]
	v_mov_b32_e32 v103, v5
.LBB1_714:                              ;   in Loop: Header=BB1_13 Depth=1
	s_or_b64 exec, exec, s[4:5]
	v_cmp_ne_u16_sdwa s[10:11], v6, s98 src0_sel:BYTE_0 src1_sel:DWORD
	s_mov_b64 s[4:5], 0
                                        ; implicit-def: $sgpr15
                                        ; implicit-def: $sgpr14
                                        ; implicit-def: $sgpr13
                                        ; implicit-def: $sgpr12
	s_and_saveexec_b64 s[16:17], s[10:11]
	s_xor_b64 s[10:11], exec, s[16:17]
; %bb.715:                              ;   in Loop: Header=BB1_13 Depth=1
	v_cmp_ne_u32_e32 vcc, -8, v105
	s_mov_b32 s13, -8
	s_mov_b32 s12, 0
	s_mov_b32 s14, 11
	;; [unrolled: 1-line block ×3, first 2 shown]
	s_and_b64 s[4:5], vcc, exec
                                        ; implicit-def: $vgpr105
; %bb.716:                              ;   in Loop: Header=BB1_13 Depth=1
	s_or_saveexec_b64 s[10:11], s[10:11]
	v_mov_b32_e32 v2, s15
	v_mov_b32_e32 v1, s14
	v_mov_b32_e32 v3, s13
	v_mov_b32_e32 v0, s12
	s_xor_b64 exec, exec, s[10:11]
; %bb.717:                              ;   in Loop: Header=BB1_13 Depth=1
	v_cmp_ne_u32_e32 vcc, 8, v105
	s_andn2_b64 s[4:5], s[4:5], exec
	s_and_b64 s[12:13], vcc, exec
	v_mov_b32_e32 v2, -8
	v_mov_b32_e32 v1, 11
	v_mov_b32_e32 v3, 8
	;; [unrolled: 1-line block ×3, first 2 shown]
	s_or_b64 s[4:5], s[4:5], s[12:13]
; %bb.718:                              ;   in Loop: Header=BB1_13 Depth=1
	s_or_b64 exec, exec, s[10:11]
	v_mov_b32_e32 v105, v3
	s_and_saveexec_b64 s[10:11], s[4:5]
; %bb.719:                              ;   in Loop: Header=BB1_13 Depth=1
	v_mov_b32_e32 v1, 0
	v_mov_b32_e32 v0, v104
	;; [unrolled: 1-line block ×3, first 2 shown]
; %bb.720:                              ;   in Loop: Header=BB1_13 Depth=1
	s_or_b64 exec, exec, s[10:11]
	v_cmp_gt_i32_e32 vcc, 11, v1
	s_mov_b64 s[4:5], -1
	s_and_saveexec_b64 s[10:11], vcc
; %bb.721:                              ;   in Loop: Header=BB1_13 Depth=1
	v_cmp_eq_u32_e32 vcc, 0, v1
	s_orn2_b64 s[4:5], vcc, exec
; %bb.722:                              ;   in Loop: Header=BB1_13 Depth=1
	s_or_b64 exec, exec, s[10:11]
	s_orn2_b64 s[4:5], s[4:5], exec
	v_mov_b32_e32 v104, v0
.LBB1_723:                              ;   in Loop: Header=BB1_13 Depth=1
	s_or_b64 exec, exec, s[8:9]
	s_and_saveexec_b64 s[8:9], s[4:5]
	s_cbranch_execz .LBB1_12
; %bb.724:                              ;   in Loop: Header=BB1_13 Depth=1
	v_lshlrev_b32_e32 v0, 2, v98
	v_and_b32_e32 v0, 0x100, v0
	ds_bpermute_b32 v104, v0, v104
	s_mov_b64 s[4:5], -1
	s_waitcnt lgkmcnt(0)
	v_cmp_ne_u32_e32 vcc, 0, v104
	s_and_saveexec_b64 s[6:7], vcc
	s_cbranch_execz .LBB1_11
; %bb.725:                              ;   in Loop: Header=BB1_13 Depth=1
	ds_bpermute_b32 v105, v0, v105
	s_waitcnt lgkmcnt(0)
	v_add_u32_e32 v4, v105, v4
	v_cmp_gt_i32_e32 vcc, 21, v4
	v_cmp_gt_i32_e64 s[4:5], v4, v89
	s_or_b64 s[4:5], vcc, s[4:5]
	s_orn2_b64 s[4:5], s[4:5], exec
	s_branch .LBB1_11
.LBB1_726:
	s_or_b64 exec, exec, s[70:71]
.LBB1_727:
	s_or_b64 exec, exec, s[54:55]
	v_cmp_eq_u32_e32 vcc, 0, v72
	s_and_b64 exec, exec, vcc
	s_cbranch_execz .LBB1_729
; %bb.728:
	v_max_i32_e32 v0, 0, v103
	global_store_dword v55, v0, s[68:69]
.LBB1_729:
	s_endpgm
	.section	.rodata,"a",@progbits
	.p2align	6, 0x0
	.amdhsa_kernel _Z22iterative_walks_kernelILi32EEvPjS0_PcS1_S1_S0_S0_PdP6loc_htS0_P11loc_ht_boolijS0_llliijS1_S1_S0_i
		.amdhsa_group_segment_fixed_size 16384
		.amdhsa_private_segment_fixed_size 88
		.amdhsa_kernarg_size 432
		.amdhsa_user_sgpr_count 10
		.amdhsa_user_sgpr_private_segment_buffer 1
		.amdhsa_user_sgpr_dispatch_ptr 1
		.amdhsa_user_sgpr_queue_ptr 0
		.amdhsa_user_sgpr_kernarg_segment_ptr 1
		.amdhsa_user_sgpr_dispatch_id 0
		.amdhsa_user_sgpr_flat_scratch_init 1
		.amdhsa_user_sgpr_kernarg_preload_length 0
		.amdhsa_user_sgpr_kernarg_preload_offset 0
		.amdhsa_user_sgpr_private_segment_size 0
		.amdhsa_uses_dynamic_stack 0
		.amdhsa_system_sgpr_private_segment_wavefront_offset 1
		.amdhsa_system_sgpr_workgroup_id_x 1
		.amdhsa_system_sgpr_workgroup_id_y 0
		.amdhsa_system_sgpr_workgroup_id_z 0
		.amdhsa_system_sgpr_workgroup_info 0
		.amdhsa_system_vgpr_workitem_id 2
		.amdhsa_next_free_vgpr 113
		.amdhsa_next_free_sgpr 100
		.amdhsa_accum_offset 116
		.amdhsa_reserve_vcc 1
		.amdhsa_reserve_flat_scratch 1
		.amdhsa_float_round_mode_32 0
		.amdhsa_float_round_mode_16_64 0
		.amdhsa_float_denorm_mode_32 3
		.amdhsa_float_denorm_mode_16_64 3
		.amdhsa_dx10_clamp 1
		.amdhsa_ieee_mode 1
		.amdhsa_fp16_overflow 0
		.amdhsa_tg_split 0
		.amdhsa_exception_fp_ieee_invalid_op 0
		.amdhsa_exception_fp_denorm_src 0
		.amdhsa_exception_fp_ieee_div_zero 0
		.amdhsa_exception_fp_ieee_overflow 0
		.amdhsa_exception_fp_ieee_underflow 0
		.amdhsa_exception_fp_ieee_inexact 0
		.amdhsa_exception_int_div_zero 0
	.end_amdhsa_kernel
	.section	.text._Z22iterative_walks_kernelILi32EEvPjS0_PcS1_S1_S0_S0_PdP6loc_htS0_P11loc_ht_boolijS0_llliijS1_S1_S0_i,"axG",@progbits,_Z22iterative_walks_kernelILi32EEvPjS0_PcS1_S1_S0_S0_PdP6loc_htS0_P11loc_ht_boolijS0_llliijS1_S1_S0_i,comdat
.Lfunc_end1:
	.size	_Z22iterative_walks_kernelILi32EEvPjS0_PcS1_S1_S0_S0_PdP6loc_htS0_P11loc_ht_boolijS0_llliijS1_S1_S0_i, .Lfunc_end1-_Z22iterative_walks_kernelILi32EEvPjS0_PcS1_S1_S0_S0_PdP6loc_htS0_P11loc_ht_boolijS0_llliijS1_S1_S0_i
                                        ; -- End function
	.section	.AMDGPU.csdata,"",@progbits
; Kernel info:
; codeLenInByte = 22132
; NumSgprs: 106
; NumVgprs: 113
; NumAgprs: 0
; TotalNumVgprs: 113
; ScratchSize: 88
; MemoryBound: 0
; FloatMode: 240
; IeeeMode: 1
; LDSByteSize: 16384 bytes/workgroup (compile time only)
; SGPRBlocks: 13
; VGPRBlocks: 14
; NumSGPRsForWavesPerEU: 106
; NumVGPRsForWavesPerEU: 113
; AccumOffset: 116
; Occupancy: 4
; WaveLimiterHint : 1
; COMPUTE_PGM_RSRC2:SCRATCH_EN: 1
; COMPUTE_PGM_RSRC2:USER_SGPR: 10
; COMPUTE_PGM_RSRC2:TRAP_HANDLER: 0
; COMPUTE_PGM_RSRC2:TGID_X_EN: 1
; COMPUTE_PGM_RSRC2:TGID_Y_EN: 0
; COMPUTE_PGM_RSRC2:TGID_Z_EN: 0
; COMPUTE_PGM_RSRC2:TIDIG_COMP_CNT: 2
; COMPUTE_PGM_RSRC3_GFX90A:ACCUM_OFFSET: 28
; COMPUTE_PGM_RSRC3_GFX90A:TG_SPLIT: 0
	.section	.text._Z22iterative_walks_kernelILi64EEvPjS0_PcS1_S1_S0_S0_PdP6loc_htS0_P11loc_ht_boolijS0_llliijS1_S1_S0_i,"axG",@progbits,_Z22iterative_walks_kernelILi64EEvPjS0_PcS1_S1_S0_S0_PdP6loc_htS0_P11loc_ht_boolijS0_llliijS1_S1_S0_i,comdat
	.protected	_Z22iterative_walks_kernelILi64EEvPjS0_PcS1_S1_S0_S0_PdP6loc_htS0_P11loc_ht_boolijS0_llliijS1_S1_S0_i ; -- Begin function _Z22iterative_walks_kernelILi64EEvPjS0_PcS1_S1_S0_S0_PdP6loc_htS0_P11loc_ht_boolijS0_llliijS1_S1_S0_i
	.globl	_Z22iterative_walks_kernelILi64EEvPjS0_PcS1_S1_S0_S0_PdP6loc_htS0_P11loc_ht_boolijS0_llliijS1_S1_S0_i
	.p2align	8
	.type	_Z22iterative_walks_kernelILi64EEvPjS0_PcS1_S1_S0_S0_PdP6loc_htS0_P11loc_ht_boolijS0_llliijS1_S1_S0_i,@function
_Z22iterative_walks_kernelILi64EEvPjS0_PcS1_S1_S0_S0_PdP6loc_htS0_P11loc_ht_boolijS0_llliijS1_S1_S0_i: ; @_Z22iterative_walks_kernelILi64EEvPjS0_PcS1_S1_S0_S0_PdP6loc_htS0_P11loc_ht_boolijS0_llliijS1_S1_S0_i
; %bb.0:
	s_add_u32 flat_scratch_lo, s8, s11
	s_addc_u32 flat_scratch_hi, s9, 0
	s_mov_b64 s[38:39], s[6:7]
	s_load_dword s6, s[6:7], 0xbc
	s_nop 0
	s_load_dword s7, s[38:39], 0xa8
	s_add_u32 s0, s0, s11
	s_addc_u32 s1, s1, 0
	s_add_u32 s64, s38, 0xb0
	s_addc_u32 s65, s39, 0
	s_waitcnt lgkmcnt(0)
	s_and_b32 s6, s6, 0xffff
	v_and_b32_e32 v1, 0x3ff, v0
	s_mul_i32 s10, s10, s6
	v_add_u32_e32 v2, s10, v1
	v_lshrrev_b32_e32 v8, 6, v2
	v_cmp_gt_i32_e32 vcc, s7, v8
	s_movk_i32 s32, 0x1400
	s_and_saveexec_b64 s[6:7], vcc
	s_cbranch_execz .LBB2_729
; %bb.1:
	s_load_dwordx16 s[48:63], s[38:39], 0x8
	s_load_dwordx4 s[8:11], s[38:39], 0x48
	s_load_dwordx2 s[16:17], s[38:39], 0x58
	s_load_dwordx2 s[66:67], s[38:39], 0x70
	s_load_dwordx4 s[12:15], s[38:39], 0x90
	v_cmp_lt_u32_e64 s[40:41], 63, v2
	v_lshlrev_b32_e32 v55, 2, v8
                                        ; implicit-def: $vgpr60_vgpr61
                                        ; implicit-def: $vgpr62_vgpr63
                                        ; implicit-def: $vgpr70_vgpr71
                                        ; implicit-def: $vgpr68_vgpr69
                                        ; implicit-def: $vgpr66_vgpr67
                                        ; implicit-def: $vgpr41
                                        ; implicit-def: $vgpr42_vgpr43
                                        ; implicit-def: $vgpr85
                                        ; implicit-def: $vgpr64_vgpr65
                                        ; implicit-def: $vgpr88
                                        ; implicit-def: $vgpr2_vgpr3
	s_and_saveexec_b64 s[6:7], s[40:41]
	s_xor_b64 s[18:19], exec, s[6:7]
	s_cbranch_execz .LBB2_7
; %bb.2:
	s_waitcnt lgkmcnt(0)
	global_load_dwordx2 v[4:5], v55, s[48:49] offset:-4
	global_load_dwordx2 v[6:7], v55, s[58:59] offset:-4
	v_lshlrev_b32_e32 v2, 3, v8
	global_load_dwordx2 v[2:3], v2, s[60:61]
	v_pk_mov_b32 v[60:61], s[52:53], s[52:53] op_sel:[0,1]
	s_waitcnt vmcnt(1)
	v_cmp_ne_u32_e32 vcc, 0, v6
	s_and_saveexec_b64 s[20:21], vcc
	s_cbranch_execz .LBB2_4
; %bb.3:
	v_add_u32_e32 v10, -1, v6
	v_mov_b32_e32 v11, 0
	v_lshlrev_b64 v[10:11], 2, v[10:11]
	v_mov_b32_e32 v9, s57
	v_add_co_u32_e64 v10, s[6:7], s56, v10
	v_addc_co_u32_e64 v11, s[6:7], v9, v11, s[6:7]
	global_load_dword v9, v[10:11], off
	v_mov_b32_e32 v10, s53
	s_waitcnt vmcnt(0)
	v_add_co_u32_e64 v60, s[6:7], s52, v9
	v_addc_co_u32_e64 v61, s[6:7], 0, v10, s[6:7]
.LBB2_4:
	s_or_b64 exec, exec, s[20:21]
	v_pk_mov_b32 v[62:63], s[54:55], s[54:55] op_sel:[0,1]
	s_and_saveexec_b64 s[6:7], vcc
	s_cbranch_execz .LBB2_6
; %bb.5:
	v_add_u32_e32 v10, -1, v6
	v_mov_b32_e32 v11, 0
	v_lshlrev_b64 v[10:11], 2, v[10:11]
	v_mov_b32_e32 v9, s57
	v_add_co_u32_e32 v10, vcc, s56, v10
	v_addc_co_u32_e32 v11, vcc, v9, v11, vcc
	global_load_dword v9, v[10:11], off
	v_mov_b32_e32 v10, s55
	s_waitcnt vmcnt(0)
	v_add_co_u32_e32 v62, vcc, s54, v9
	v_addc_co_u32_e32 v63, vcc, 0, v10, vcc
.LBB2_6:
	s_or_b64 exec, exec, s[6:7]
	global_load_dwordx2 v[10:11], v55, s[8:9] offset:-4
	v_mad_u64_u32 v[12:13], s[6:7], v8, s66, 0
	v_pk_mov_b32 v[14:15], s[12:13], s[12:13] op_sel:[0,1]
	v_mad_u64_u32 v[66:67], s[6:7], v12, 24, s[10:11]
	v_mad_u64_u32 v[68:69], s[6:7], v8, s66, v[14:15]
	v_sub_u32_e32 v85, v5, v4
	v_mul_lo_u32 v5, v8, s67
	v_pk_mov_b32 v[16:17], s[14:15], s[14:15] op_sel:[0,1]
	s_add_u32 s6, s17, s66
	v_sub_u32_e32 v88, v7, v6
	v_add_co_u32_e32 v64, vcc, s50, v4
	v_add_u32_e32 v6, v13, v5
	v_mov_b32_e32 v4, v67
	v_mad_u64_u32 v[70:71], s[6:7], s6, v8, v[16:17]
	v_add_u32_e32 v69, v5, v69
	s_addc_u32 s17, 0, s67
	v_mad_u64_u32 v[4:5], s[6:7], v6, 24, v[4:5]
	v_mov_b32_e32 v6, v71
	v_mov_b32_e32 v9, s51
	;; [unrolled: 1-line block ×3, first 2 shown]
	v_mad_u64_u32 v[4:5], s[6:7], s17, v8, v[6:7]
	v_addc_co_u32_e32 v65, vcc, 0, v9, vcc
	v_mov_b32_e32 v71, v4
	s_waitcnt vmcnt(0)
	v_mad_u64_u32 v[42:43], s[6:7], v10, 56, s[62:63]
	v_sub_u32_e32 v41, v11, v10
.LBB2_7:
	s_or_saveexec_b64 s[6:7], s[18:19]
	s_load_dwordx2 s[68:69], s[38:39], 0xa0
	s_xor_b64 exec, exec, s[6:7]
	s_cbranch_execz .LBB2_9
; %bb.8:
	s_waitcnt lgkmcnt(0)
	s_load_dwordx2 s[18:19], s[60:61], 0x0
	s_load_dword s17, s[58:59], 0x0
	s_load_dword s20, s[48:49], 0x0
	s_load_dword s21, s[8:9], 0x0
	v_pk_mov_b32 v[64:65], s[50:51], s[50:51] op_sel:[0,1]
	s_waitcnt lgkmcnt(0)
	v_pk_mov_b32 v[2:3], s[18:19], s[18:19] op_sel:[0,1]
	v_mov_b32_e32 v88, s17
	v_mov_b32_e32 v85, s20
	v_pk_mov_b32 v[42:43], s[62:63], s[62:63] op_sel:[0,1]
	v_mov_b32_e32 v41, s21
	v_pk_mov_b32 v[66:67], s[10:11], s[10:11] op_sel:[0,1]
	v_pk_mov_b32 v[68:69], s[12:13], s[12:13] op_sel:[0,1]
	;; [unrolled: 1-line block ×5, first 2 shown]
.LBB2_9:
	s_or_b64 exec, exec, s[6:7]
	v_min_i32_e32 v89, 0x79, v85
	s_waitcnt lgkmcnt(0)
	s_cmp_gt_i32 s16, 20
	s_cselect_b64 s[6:7], -1, 0
	v_cmp_le_i32_e32 vcc, s16, v89
	v_and_b32_e32 v72, 63, v1
	s_and_b64 s[6:7], s[6:7], vcc
	v_mov_b32_e32 v103, 0
	s_and_saveexec_b64 s[54:55], s[6:7]
	s_cbranch_execz .LBB2_727
; %bb.10:
	s_load_dwordx2 s[6:7], s[4:5], 0x4
	s_load_dword s33, s[38:39], 0x88
	v_bfe_u32 v4, v0, 10, 10
	v_bfe_u32 v0, v0, 20, 10
	v_add_co_u32_e32 v74, vcc, s58, v55
	s_waitcnt lgkmcnt(0)
	s_lshr_b32 s4, s6, 16
	s_mul_i32 s4, s4, s7
	v_mul_lo_u32 v1, s4, v1
	v_mad_u32_u24 v1, v4, s7, v1
	s_getpc_b64 s[4:5]
	s_add_u32 s4, s4, .str.3@rel32@lo+4
	s_addc_u32 s5, s5, .str.3@rel32@hi+12
	v_add_lshl_u32 v90, v1, v0, 4
	v_mov_b32_e32 v0, s59
	s_cmp_lg_u64 s[4:5], 0
	v_addc_co_u32_e32 v75, vcc, 0, v0, vcc
	s_cselect_b64 s[72:73], -1, 0
	v_mov_b32_e32 v0, 0
	s_getpc_b64 s[4:5]
	s_add_u32 s4, s4, .str.4@rel32@lo+4
	s_addc_u32 s5, s5, .str.4@rel32@hi+12
	v_add_u32_e32 v91, 16, v0
	v_add_u32_e32 v92, 32, v0
	;; [unrolled: 1-line block ×3, first 2 shown]
	s_cmp_lg_u64 s[4:5], 0
	v_cvt_i32_f64_e32 v0, v[2:3]
	s_mov_b32 s4, 0x9999999a
	v_cvt_f64_i32_e32 v[0:1], v0
	s_mov_b32 s5, 0x3fc99999
	v_mul_f64 v[2:3], v[0:1], s[4:5]
	v_max_f64 v[76:77], v[2:3], 2.0
	s_mov_b32 s4, 0x33333333
	v_cvt_f32_u32_e32 v2, s66
	s_mov_b32 s5, 0x3fd33333
	v_mul_f64 v[0:1], v[0:1], s[4:5]
	v_max_f64 v[78:79], v[0:1], 2.0
	v_xad_u32 v0, v72, -1, v41
	s_movk_i32 s4, 0xbf
	v_lshrrev_b32_e32 v1, 6, v0
	v_cmp_lt_u32_e64 s[50:51], s4, v0
	v_rcp_iflag_f32_e32 v0, v2
	v_cvt_f32_u32_e32 v2, v41
	s_cselect_b64 s[74:75], -1, 0
	s_cmp_gt_i32 s66, 0
	v_mul_f32_e32 v0, 0x4f7ffffe, v0
	v_rcp_iflag_f32_e32 v2, v2
	v_cvt_u32_f32_e32 v0, v0
	v_add_u32_e32 v1, 1, v1
	s_cselect_b64 s[76:77], -1, 0
	v_mul_f32_e32 v2, 0x4f7ffffe, v2
	v_and_b32_e32 v94, 0x7fffffc, v1
	s_sub_i32 s4, 0, s66
	v_cvt_u32_f32_e32 v2, v2
	v_cmp_ne_u32_e64 s[52:53], v1, v94
	v_mul_lo_u32 v1, s4, v0
	v_mul_hi_u32 v1, v0, v1
	v_add_u32_e32 v95, v0, v1
	v_sub_u32_e32 v0, 0, v41
	v_mul_lo_u32 v0, v0, v2
	v_mov_b32_e32 v47, 0
	v_mul_hi_u32 v0, v2, v0
	v_mov_b32_e32 v73, v47
	v_add_u32_e32 v84, v2, v0
	v_add_co_u32_e32 v86, vcc, 8, v42
	v_mov_b32_e32 v59, 1
	v_mbcnt_lo_u32_b32 v0, -1, 0
	v_cmp_lt_u32_e64 s[42:43], v72, v41
	s_mov_b32 s60, 0
	v_cmp_ne_u32_e64 s[44:45], 0, v88
	s_mov_b64 s[70:71], 0
	v_cmp_gt_i64_e64 s[46:47], s[66:67], v[72:73]
	v_cmp_eq_u32_e64 s[48:49], 0, v72
	v_lshl_or_b32 v80, v94, 6, v72
	v_or_b32_e32 v83, 64, v72
	v_mov_b32_e32 v82, v72
	v_addc_co_u32_e32 v87, vcc, 0, v43, vcc
	v_mov_b32_e32 v4, s16
	v_mov_b32_e32 v96, -1
	s_movk_i32 s37, 0xff1d
	s_movk_i32 s88, 0x4e
	;; [unrolled: 1-line block ×9, first 2 shown]
	v_mov_b32_e32 v97, 1
	s_mov_b32 s96, 0x5bd1e995
	s_movk_i32 s97, 0x57
	s_movk_i32 s98, 0x58
	v_mbcnt_hi_u32_b32 v98, -1, v0
	v_mov_b32_e32 v58, 2
	v_mov_b32_e32 v44, 33
	;; [unrolled: 1-line block ×9, first 2 shown]
	s_branch .LBB2_13
.LBB2_11:                               ;   in Loop: Header=BB2_13 Depth=1
	s_or_b64 exec, exec, s[6:7]
	s_orn2_b64 s[6:7], s[4:5], exec
.LBB2_12:                               ;   in Loop: Header=BB2_13 Depth=1
	s_or_b64 exec, exec, s[8:9]
	s_and_b64 s[4:5], exec, s[6:7]
	s_or_b64 s[70:71], s[4:5], s[70:71]
	s_andn2_b64 exec, exec, s[70:71]
	s_cbranch_execz .LBB2_726
.LBB2_13:                               ; =>This Loop Header: Depth=1
                                        ;     Child Loop BB2_16 Depth 2
                                        ;     Child Loop BB2_22 Depth 2
	;; [unrolled: 1-line block ×3, first 2 shown]
                                        ;       Child Loop BB2_41 Depth 3
                                        ;         Child Loop BB2_45 Depth 4
                                        ;         Child Loop BB2_53 Depth 4
	;; [unrolled: 1-line block ×9, first 2 shown]
                                        ;           Child Loop BB2_74 Depth 5
                                        ;           Child Loop BB2_81 Depth 5
	;; [unrolled: 1-line block ×11, first 2 shown]
                                        ;     Child Loop BB2_227 Depth 2
                                        ;       Child Loop BB2_336 Depth 3
                                        ;       Child Loop BB2_344 Depth 3
	;; [unrolled: 1-line block ×9, first 2 shown]
                                        ;         Child Loop BB2_437 Depth 4
                                        ;         Child Loop BB2_444 Depth 4
                                        ;         Child Loop BB2_452 Depth 4
                                        ;         Child Loop BB2_460 Depth 4
                                        ;         Child Loop BB2_468 Depth 4
                                        ;         Child Loop BB2_476 Depth 4
                                        ;         Child Loop BB2_484 Depth 4
                                        ;         Child Loop BB2_492 Depth 4
                                        ;         Child Loop BB2_500 Depth 4
                                        ;         Child Loop BB2_509 Depth 4
                                        ;         Child Loop BB2_514 Depth 4
                                        ;     Child Loop BB2_579 Depth 2
                                        ;     Child Loop BB2_582 Depth 2
                                        ;     Child Loop BB2_588 Depth 2
                                        ;       Child Loop BB2_594 Depth 3
                                        ;       Child Loop BB2_613 Depth 3
	;; [unrolled: 1-line block ×3, first 2 shown]
                                        ;         Child Loop BB2_624 Depth 4
                                        ;       Child Loop BB2_638 Depth 3
                                        ;       Child Loop BB2_657 Depth 3
	;; [unrolled: 1-line block ×3, first 2 shown]
                                        ;         Child Loop BB2_668 Depth 4
                                        ;     Child Loop BB2_712 Depth 2
	s_and_saveexec_b64 s[6:7], s[42:43]
	s_cbranch_execz .LBB2_23
; %bb.14:                               ;   in Loop: Header=BB2_13 Depth=1
	s_mov_b64 s[8:9], -1
	v_mov_b32_e32 v5, v72
	v_pk_mov_b32 v[0:1], v[72:73], v[72:73] op_sel:[0,1]
	s_and_saveexec_b64 s[4:5], s[50:51]
	s_cbranch_execz .LBB2_20
; %bb.15:                               ;   in Loop: Header=BB2_13 Depth=1
	s_mov_b64 s[8:9], 0
	v_mov_b32_e32 v2, v94
	v_pk_mov_b32 v[0:1], v[82:83], v[82:83] op_sel:[0,1]
.LBB2_16:                               ;   Parent Loop BB2_13 Depth=1
                                        ; =>  This Inner Loop Header: Depth=2
	v_add_u32_e32 v2, -4, v2
	v_add_u32_e32 v3, 0x80, v1
	v_add_u32_e32 v5, 0x80, v0
	v_cmp_eq_u32_e32 vcc, 0, v2
	v_mad_u64_u32 v[6:7], s[10:11], v0, 56, v[42:43]
	v_mad_u64_u32 v[8:9], s[10:11], v1, 56, v[42:43]
	v_add_u32_e32 v1, 0x100, v1
	v_add_u32_e32 v0, 0x100, v0
	v_mad_u64_u32 v[10:11], s[10:11], v5, 56, v[42:43]
	v_mad_u64_u32 v[12:13], s[10:11], v3, 56, v[42:43]
	s_or_b64 s[8:9], vcc, s[8:9]
	global_store_dword v[6:7], v96, off offset:8
	global_store_dword v[8:9], v96, off offset:8
	;; [unrolled: 1-line block ×4, first 2 shown]
	s_andn2_b64 exec, exec, s[8:9]
	s_cbranch_execnz .LBB2_16
; %bb.17:                               ;   in Loop: Header=BB2_13 Depth=1
	s_or_b64 exec, exec, s[8:9]
	s_mov_b64 s[8:9], 0
                                        ; implicit-def: $vgpr0_vgpr1
	s_and_saveexec_b64 s[10:11], s[52:53]
	s_xor_b64 s[10:11], exec, s[10:11]
; %bb.18:                               ;   in Loop: Header=BB2_13 Depth=1
	v_mov_b32_e32 v81, v47
	s_mov_b64 s[8:9], exec
	v_pk_mov_b32 v[0:1], v[80:81], v[80:81] op_sel:[0,1]
; %bb.19:                               ;   in Loop: Header=BB2_13 Depth=1
	s_or_b64 exec, exec, s[10:11]
	s_orn2_b64 s[8:9], s[8:9], exec
	v_mov_b32_e32 v5, v80
.LBB2_20:                               ;   in Loop: Header=BB2_13 Depth=1
	s_or_b64 exec, exec, s[4:5]
	s_and_b64 exec, exec, s[8:9]
	s_cbranch_execz .LBB2_23
; %bb.21:                               ;   in Loop: Header=BB2_13 Depth=1
	v_mad_u64_u32 v[2:3], s[4:5], v0, 56, v[86:87]
	v_mov_b32_e32 v0, v3
	v_mad_u64_u32 v[0:1], s[4:5], v1, 56, v[0:1]
	v_mov_b32_e32 v3, v0
	s_mov_b64 s[8:9], 0
.LBB2_22:                               ;   Parent Loop BB2_13 Depth=1
                                        ; =>  This Inner Loop Header: Depth=2
	v_add_u32_e32 v5, 64, v5
	global_store_dword v[2:3], v96, off
	v_add_co_u32_e32 v2, vcc, 0xe00, v2
	v_cmp_ge_u32_e64 s[4:5], v5, v41
	s_or_b64 s[8:9], s[4:5], s[8:9]
	v_addc_co_u32_e32 v3, vcc, 0, v3, vcc
	s_andn2_b64 exec, exec, s[8:9]
	s_cbranch_execnz .LBB2_22
.LBB2_23:                               ;   in Loop: Header=BB2_13 Depth=1
	s_or_b64 exec, exec, s[6:7]
	s_and_saveexec_b64 s[78:79], s[44:45]
	s_cbranch_execz .LBB2_223
; %bb.24:                               ;   in Loop: Header=BB2_13 Depth=1
	s_mov_b32 s99, 0
	s_mov_b64 s[80:81], 0
	v_mov_b32_e32 v81, 0
	s_branch .LBB2_27
.LBB2_25:                               ;   in Loop: Header=BB2_27 Depth=2
	s_or_b64 exec, exec, s[84:85]
	v_add_u32_e32 v81, v106, v81
.LBB2_26:                               ;   in Loop: Header=BB2_27 Depth=2
	s_or_b64 exec, exec, s[82:83]
	s_add_i32 s99, s99, 1
	v_cmp_eq_u32_e32 vcc, s99, v88
	s_or_b64 s[80:81], vcc, s[80:81]
	s_andn2_b64 exec, exec, s[80:81]
	s_cbranch_execz .LBB2_223
.LBB2_27:                               ;   Parent Loop BB2_13 Depth=1
                                        ; =>  This Loop Header: Depth=2
                                        ;       Child Loop BB2_41 Depth 3
                                        ;         Child Loop BB2_45 Depth 4
                                        ;         Child Loop BB2_53 Depth 4
	;; [unrolled: 1-line block ×9, first 2 shown]
                                        ;           Child Loop BB2_74 Depth 5
                                        ;           Child Loop BB2_81 Depth 5
	;; [unrolled: 1-line block ×11, first 2 shown]
	s_cmp_lg_u32 s99, 0
	s_cbranch_scc0 .LBB2_30
; %bb.28:                               ;   in Loop: Header=BB2_27 Depth=2
	global_load_dword v0, v[74:75], off
	v_mov_b32_e32 v2, s57
	v_mov_b32_e32 v5, s57
	s_waitcnt vmcnt(0)
	v_sub_u32_e32 v0, v0, v88
	v_add_u32_e32 v46, s99, v0
	v_lshlrev_b64 v[0:1], 2, v[46:47]
	v_add_u32_e32 v46, -1, v46
	v_add_co_u32_e32 v0, vcc, s56, v0
	v_addc_co_u32_e32 v1, vcc, v2, v1, vcc
	v_lshlrev_b64 v[2:3], 2, v[46:47]
	v_add_co_u32_e32 v2, vcc, s56, v2
	v_addc_co_u32_e32 v3, vcc, v5, v3, vcc
	global_load_dword v0, v[0:1], off
	s_nop 0
	global_load_dword v1, v[2:3], off
	s_waitcnt vmcnt(0)
	v_sub_u32_e32 v106, v0, v1
	s_cbranch_execz .LBB2_31
; %bb.29:                               ;   in Loop: Header=BB2_27 Depth=2
	v_cmp_ge_i32_e32 vcc, v106, v4
	s_and_saveexec_b64 s[82:83], vcc
	s_cbranch_execz .LBB2_26
	s_branch .LBB2_38
.LBB2_30:                               ;   in Loop: Header=BB2_27 Depth=2
                                        ; implicit-def: $vgpr106
.LBB2_31:                               ;   in Loop: Header=BB2_27 Depth=2
                                        ; implicit-def: $vgpr106
	s_and_saveexec_b64 s[4:5], s[40:41]
	s_xor_b64 s[4:5], exec, s[4:5]
	s_cbranch_execz .LBB2_35
; %bb.32:                               ;   in Loop: Header=BB2_27 Depth=2
	global_load_dwordx2 v[0:1], v[74:75], off offset:-4
	v_mov_b32_e32 v5, s57
	s_waitcnt vmcnt(0)
	v_sub_u32_e32 v46, v1, v88
	v_lshlrev_b64 v[2:3], 2, v[46:47]
	v_add_co_u32_e32 v2, vcc, s56, v2
	v_addc_co_u32_e32 v3, vcc, v5, v3, vcc
	global_load_dword v106, v[2:3], off
	v_cmp_ne_u32_e32 vcc, 0, v0
	s_and_saveexec_b64 s[6:7], vcc
	s_cbranch_execz .LBB2_34
; %bb.33:                               ;   in Loop: Header=BB2_27 Depth=2
	v_add_u32_e32 v46, -1, v0
	v_lshlrev_b64 v[0:1], 2, v[46:47]
	v_mov_b32_e32 v2, s57
	v_add_co_u32_e32 v0, vcc, s56, v0
	v_addc_co_u32_e32 v1, vcc, v2, v1, vcc
	global_load_dword v0, v[0:1], off
	s_waitcnt vmcnt(0)
	v_sub_u32_e32 v106, v106, v0
.LBB2_34:                               ;   in Loop: Header=BB2_27 Depth=2
	s_or_b64 exec, exec, s[6:7]
.LBB2_35:                               ;   in Loop: Header=BB2_27 Depth=2
	s_andn2_saveexec_b64 s[4:5], s[4:5]
	s_cbranch_execz .LBB2_37
; %bb.36:                               ;   in Loop: Header=BB2_27 Depth=2
	global_load_dword v0, v47, s[58:59]
	v_mov_b32_e32 v2, s57
	s_waitcnt vmcnt(0)
	v_sub_u32_e32 v46, v0, v88
	v_lshlrev_b64 v[0:1], 2, v[46:47]
	v_add_co_u32_e32 v0, vcc, s56, v0
	v_addc_co_u32_e32 v1, vcc, v2, v1, vcc
	global_load_dword v106, v[0:1], off
.LBB2_37:                               ;   in Loop: Header=BB2_27 Depth=2
	s_or_b64 exec, exec, s[4:5]
	s_waitcnt vmcnt(0)
	v_cmp_ge_i32_e32 vcc, v106, v4
	s_and_saveexec_b64 s[82:83], vcc
	s_cbranch_execz .LBB2_26
.LBB2_38:                               ;   in Loop: Header=BB2_27 Depth=2
	v_sub_u32_e32 v107, v106, v4
	v_cmp_lt_i32_e32 vcc, v72, v107
	s_and_saveexec_b64 s[84:85], vcc
	s_cbranch_execz .LBB2_25
; %bb.39:                               ;   in Loop: Header=BB2_27 Depth=2
	v_add_co_u32_e32 v108, vcc, v60, v81
	v_addc_co_u32_e32 v109, vcc, 0, v61, vcc
	v_add_co_u32_e32 v110, vcc, v62, v81
	v_addc_co_u32_e32 v111, vcc, 0, v63, vcc
	s_mov_b64 s[86:87], 0
	v_mov_b32_e32 v112, v72
	s_branch .LBB2_41
.LBB2_40:                               ;   in Loop: Header=BB2_41 Depth=3
	s_or_b64 exec, exec, s[4:5]
	v_add_u32_e32 v112, 64, v112
	v_cmp_ge_i32_e32 vcc, v112, v107
	s_or_b64 s[86:87], vcc, s[86:87]
	s_andn2_b64 exec, exec, s[86:87]
	s_cbranch_execz .LBB2_25
.LBB2_41:                               ;   Parent Loop BB2_13 Depth=1
                                        ;     Parent Loop BB2_27 Depth=2
                                        ; =>    This Loop Header: Depth=3
                                        ;         Child Loop BB2_45 Depth 4
                                        ;         Child Loop BB2_53 Depth 4
	;; [unrolled: 1-line block ×9, first 2 shown]
                                        ;           Child Loop BB2_74 Depth 5
                                        ;           Child Loop BB2_81 Depth 5
	;; [unrolled: 1-line block ×11, first 2 shown]
	v_add_co_u32_e32 v2, vcc, v108, v112
	s_add_u32 s8, s38, 0xb0
	v_addc_co_u32_e32 v3, vcc, 0, v109, vcc
	s_addc_u32 s9, s39, 0
	v_mov_b32_e32 v0, v42
	v_mov_b32_e32 v1, v43
	;; [unrolled: 1-line block ×3, first 2 shown]
	s_getpc_b64 s[4:5]
	s_add_u32 s4, s4, _Z13ht_get_atomicP6loc_ht9cstr_typej@rel32@lo+4
	s_addc_u32 s5, s5, _Z13ht_get_atomicP6loc_ht9cstr_typej@rel32@hi+12
	s_swappc_b64 s[30:31], s[4:5]
	v_add_u32_e32 v2, v112, v4
	v_cmp_ge_i32_e32 vcc, v2, v106
	s_and_saveexec_b64 s[6:7], vcc
	s_cbranch_execz .LBB2_180
; %bb.42:                               ;   in Loop: Header=BB2_41 Depth=3
	s_load_dwordx2 s[8:9], s[64:65], 0x50
	v_readfirstlane_b32 s4, v98
	v_cmp_eq_u32_e64 s[4:5], s4, v98
	v_pk_mov_b32 v[10:11], 0, 0
	s_and_saveexec_b64 s[10:11], s[4:5]
	s_cbranch_execz .LBB2_48
; %bb.43:                               ;   in Loop: Header=BB2_41 Depth=3
	s_waitcnt lgkmcnt(0)
	global_load_dwordx2 v[8:9], v47, s[8:9] offset:24 glc
	s_waitcnt vmcnt(0)
	buffer_invl2
	buffer_wbinvl1_vol
	global_load_dwordx2 v[6:7], v47, s[8:9] offset:40
	global_load_dwordx2 v[10:11], v47, s[8:9]
	s_waitcnt vmcnt(1)
	v_and_b32_e32 v3, v6, v8
	v_and_b32_e32 v5, v7, v9
	v_mul_lo_u32 v5, v5, 24
	v_mul_hi_u32 v6, v3, 24
	v_mul_lo_u32 v3, v3, 24
	v_add_u32_e32 v5, v6, v5
	s_waitcnt vmcnt(0)
	v_add_co_u32_e32 v6, vcc, v10, v3
	v_addc_co_u32_e32 v7, vcc, v11, v5, vcc
	global_load_dwordx2 v[6:7], v[6:7], off glc
	s_waitcnt vmcnt(0)
	global_atomic_cmpswap_x2 v[10:11], v47, v[6:9], s[8:9] offset:24 glc
	s_waitcnt vmcnt(0)
	buffer_invl2
	buffer_wbinvl1_vol
	v_cmp_ne_u64_e32 vcc, v[10:11], v[8:9]
	s_and_saveexec_b64 s[12:13], vcc
	s_cbranch_execz .LBB2_47
; %bb.44:                               ;   in Loop: Header=BB2_41 Depth=3
	s_mov_b64 s[14:15], 0
.LBB2_45:                               ;   Parent Loop BB2_13 Depth=1
                                        ;     Parent Loop BB2_27 Depth=2
                                        ;       Parent Loop BB2_41 Depth=3
                                        ; =>      This Inner Loop Header: Depth=4
	s_sleep 1
	global_load_dwordx2 v[6:7], v47, s[8:9] offset:40
	global_load_dwordx2 v[12:13], v47, s[8:9]
	v_pk_mov_b32 v[8:9], v[10:11], v[10:11] op_sel:[0,1]
	s_waitcnt vmcnt(1)
	v_and_b32_e32 v5, v6, v8
	v_and_b32_e32 v3, v7, v9
	s_waitcnt vmcnt(0)
	v_mad_u64_u32 v[6:7], s[16:17], v5, 24, v[12:13]
	v_mov_b32_e32 v10, v7
	v_mad_u64_u32 v[10:11], s[16:17], v3, 24, v[10:11]
	v_mov_b32_e32 v7, v10
	global_load_dwordx2 v[6:7], v[6:7], off glc
	s_waitcnt vmcnt(0)
	global_atomic_cmpswap_x2 v[10:11], v47, v[6:9], s[8:9] offset:24 glc
	s_waitcnt vmcnt(0)
	buffer_invl2
	buffer_wbinvl1_vol
	v_cmp_eq_u64_e32 vcc, v[10:11], v[8:9]
	s_or_b64 s[14:15], vcc, s[14:15]
	s_andn2_b64 exec, exec, s[14:15]
	s_cbranch_execnz .LBB2_45
; %bb.46:                               ;   in Loop: Header=BB2_41 Depth=3
	s_or_b64 exec, exec, s[14:15]
.LBB2_47:                               ;   in Loop: Header=BB2_41 Depth=3
	s_or_b64 exec, exec, s[12:13]
.LBB2_48:                               ;   in Loop: Header=BB2_41 Depth=3
	s_or_b64 exec, exec, s[10:11]
	s_waitcnt lgkmcnt(0)
	global_load_dwordx2 v[12:13], v47, s[8:9] offset:40
	global_load_dwordx4 v[6:9], v47, s[8:9]
	v_readfirstlane_b32 s10, v10
	v_readfirstlane_b32 s11, v11
	s_mov_b64 s[12:13], exec
	s_waitcnt vmcnt(1)
	v_readfirstlane_b32 s14, v12
	v_readfirstlane_b32 s15, v13
	s_and_b64 s[14:15], s[10:11], s[14:15]
	s_mul_i32 s16, s15, 24
	s_mul_hi_u32 s17, s14, 24
	s_mul_i32 s18, s14, 24
	s_add_i32 s16, s17, s16
	v_mov_b32_e32 v3, s16
	s_waitcnt vmcnt(0)
	v_add_co_u32_e32 v10, vcc, s18, v6
	v_addc_co_u32_e32 v11, vcc, v7, v3, vcc
	s_and_saveexec_b64 s[16:17], s[4:5]
	s_cbranch_execz .LBB2_50
; %bb.49:                               ;   in Loop: Header=BB2_41 Depth=3
	v_pk_mov_b32 v[56:57], s[12:13], s[12:13] op_sel:[0,1]
	global_store_dwordx4 v[10:11], v[56:59], off offset:8
.LBB2_50:                               ;   in Loop: Header=BB2_41 Depth=3
	s_or_b64 exec, exec, s[16:17]
	s_lshl_b64 s[12:13], s[14:15], 12
	v_mov_b32_e32 v3, s13
	v_add_co_u32_e32 v12, vcc, s12, v8
	s_mov_b32 s61, s60
	v_addc_co_u32_e32 v3, vcc, v9, v3, vcc
	s_mov_b32 s62, s60
	s_mov_b32 s63, s60
	v_pk_mov_b32 v[14:15], s[60:61], s[60:61] op_sel:[0,1]
	v_lshlrev_b32_e32 v5, 6, v98
	v_mov_b32_e32 v45, v47
	v_mov_b32_e32 v46, v47
	v_readfirstlane_b32 s12, v12
	v_readfirstlane_b32 s13, v3
	v_pk_mov_b32 v[16:17], s[62:63], s[62:63] op_sel:[0,1]
	s_nop 3
	global_store_dwordx4 v5, v[44:47], s[12:13]
	global_store_dwordx4 v5, v[14:17], s[12:13] offset:16
	global_store_dwordx4 v5, v[14:17], s[12:13] offset:32
	;; [unrolled: 1-line block ×3, first 2 shown]
	s_and_saveexec_b64 s[12:13], s[4:5]
	s_cbranch_execz .LBB2_58
; %bb.51:                               ;   in Loop: Header=BB2_41 Depth=3
	global_load_dwordx2 v[18:19], v47, s[8:9] offset:32 glc
	global_load_dwordx2 v[8:9], v47, s[8:9] offset:40
	v_mov_b32_e32 v16, s10
	v_mov_b32_e32 v17, s11
	s_waitcnt vmcnt(0)
	v_and_b32_e32 v8, s10, v8
	v_and_b32_e32 v9, s11, v9
	v_mul_lo_u32 v9, v9, 24
	v_mul_hi_u32 v13, v8, 24
	v_mul_lo_u32 v8, v8, 24
	v_add_u32_e32 v9, v13, v9
	v_add_co_u32_e32 v14, vcc, v6, v8
	v_addc_co_u32_e32 v15, vcc, v7, v9, vcc
	global_store_dwordx2 v[14:15], v[18:19], off
	buffer_wbl2
	s_waitcnt vmcnt(0)
	global_atomic_cmpswap_x2 v[8:9], v47, v[16:19], s[8:9] offset:32 glc
	s_waitcnt vmcnt(0)
	v_cmp_ne_u64_e32 vcc, v[8:9], v[18:19]
	s_and_saveexec_b64 s[14:15], vcc
	s_cbranch_execz .LBB2_54
; %bb.52:                               ;   in Loop: Header=BB2_41 Depth=3
	s_mov_b64 s[16:17], 0
.LBB2_53:                               ;   Parent Loop BB2_13 Depth=1
                                        ;     Parent Loop BB2_27 Depth=2
                                        ;       Parent Loop BB2_41 Depth=3
                                        ; =>      This Inner Loop Header: Depth=4
	s_sleep 1
	global_store_dwordx2 v[14:15], v[8:9], off
	v_mov_b32_e32 v6, s10
	v_mov_b32_e32 v7, s11
	buffer_wbl2
	s_waitcnt vmcnt(0)
	global_atomic_cmpswap_x2 v[6:7], v47, v[6:9], s[8:9] offset:32 glc
	s_waitcnt vmcnt(0)
	v_cmp_eq_u64_e32 vcc, v[6:7], v[8:9]
	s_or_b64 s[16:17], vcc, s[16:17]
	v_pk_mov_b32 v[8:9], v[6:7], v[6:7] op_sel:[0,1]
	s_andn2_b64 exec, exec, s[16:17]
	s_cbranch_execnz .LBB2_53
.LBB2_54:                               ;   in Loop: Header=BB2_41 Depth=3
	s_or_b64 exec, exec, s[14:15]
	global_load_dwordx2 v[6:7], v47, s[8:9] offset:16
	s_mov_b64 s[16:17], exec
	v_mbcnt_lo_u32_b32 v8, s16, 0
	v_mbcnt_hi_u32_b32 v8, s17, v8
	v_cmp_eq_u32_e32 vcc, 0, v8
	s_and_saveexec_b64 s[14:15], vcc
	s_cbranch_execz .LBB2_56
; %bb.55:                               ;   in Loop: Header=BB2_41 Depth=3
	s_bcnt1_i32_b64 s16, s[16:17]
	v_mov_b32_e32 v46, s16
	buffer_wbl2
	s_waitcnt vmcnt(0)
	global_atomic_add_x2 v[6:7], v[46:47], off offset:8
.LBB2_56:                               ;   in Loop: Header=BB2_41 Depth=3
	s_or_b64 exec, exec, s[14:15]
	s_waitcnt vmcnt(0)
	global_load_dwordx2 v[8:9], v[6:7], off offset:16
	s_waitcnt vmcnt(0)
	v_cmp_eq_u64_e32 vcc, 0, v[8:9]
	s_cbranch_vccnz .LBB2_58
; %bb.57:                               ;   in Loop: Header=BB2_41 Depth=3
	global_load_dword v46, v[6:7], off offset:24
	s_waitcnt vmcnt(0)
	v_and_b32_e32 v6, 0xffffff, v46
	v_readfirstlane_b32 m0, v6
	buffer_wbl2
	global_store_dwordx2 v[8:9], v[46:47], off
	s_sendmsg sendmsg(MSG_INTERRUPT)
.LBB2_58:                               ;   in Loop: Header=BB2_41 Depth=3
	s_or_b64 exec, exec, s[12:13]
	v_add_co_u32_e32 v6, vcc, v12, v5
	v_addc_co_u32_e32 v7, vcc, 0, v3, vcc
	s_branch .LBB2_62
.LBB2_59:                               ;   in Loop: Header=BB2_62 Depth=4
	s_or_b64 exec, exec, s[12:13]
	v_readfirstlane_b32 s12, v3
	s_cmp_eq_u32 s12, 0
	s_cbranch_scc1 .LBB2_61
; %bb.60:                               ;   in Loop: Header=BB2_62 Depth=4
	s_sleep 1
	s_cbranch_execnz .LBB2_62
	s_branch .LBB2_64
.LBB2_61:                               ;   in Loop: Header=BB2_41 Depth=3
	s_branch .LBB2_64
.LBB2_62:                               ;   Parent Loop BB2_13 Depth=1
                                        ;     Parent Loop BB2_27 Depth=2
                                        ;       Parent Loop BB2_41 Depth=3
                                        ; =>      This Inner Loop Header: Depth=4
	v_mov_b32_e32 v3, 1
	s_and_saveexec_b64 s[12:13], s[4:5]
	s_cbranch_execz .LBB2_59
; %bb.63:                               ;   in Loop: Header=BB2_62 Depth=4
	global_load_dword v3, v[10:11], off offset:20 glc
	s_waitcnt vmcnt(0)
	buffer_invl2
	buffer_wbinvl1_vol
	v_and_b32_e32 v3, 1, v3
	s_branch .LBB2_59
.LBB2_64:                               ;   in Loop: Header=BB2_41 Depth=3
	global_load_dwordx2 v[6:7], v[6:7], off
	s_and_saveexec_b64 s[12:13], s[4:5]
	s_cbranch_execz .LBB2_68
; %bb.65:                               ;   in Loop: Header=BB2_41 Depth=3
	global_load_dwordx2 v[12:13], v47, s[8:9] offset:40
	global_load_dwordx2 v[14:15], v47, s[8:9] offset:24 glc
	global_load_dwordx2 v[16:17], v47, s[8:9]
	v_mov_b32_e32 v3, s11
	s_waitcnt vmcnt(2)
	v_add_co_u32_e32 v11, vcc, 1, v12
	v_addc_co_u32_e32 v18, vcc, 0, v13, vcc
	v_add_co_u32_e32 v8, vcc, s10, v11
	v_addc_co_u32_e32 v9, vcc, v18, v3, vcc
	v_cmp_eq_u64_e32 vcc, 0, v[8:9]
	v_cndmask_b32_e32 v9, v9, v18, vcc
	v_cndmask_b32_e32 v8, v8, v11, vcc
	v_and_b32_e32 v3, v9, v13
	v_and_b32_e32 v11, v8, v12
	v_mul_lo_u32 v3, v3, 24
	v_mul_hi_u32 v12, v11, 24
	v_mul_lo_u32 v11, v11, 24
	v_add_u32_e32 v3, v12, v3
	s_waitcnt vmcnt(0)
	v_add_co_u32_e32 v12, vcc, v16, v11
	v_addc_co_u32_e32 v13, vcc, v17, v3, vcc
	v_mov_b32_e32 v10, v14
	global_store_dwordx2 v[12:13], v[14:15], off
	v_mov_b32_e32 v11, v15
	buffer_wbl2
	s_waitcnt vmcnt(0)
	global_atomic_cmpswap_x2 v[10:11], v47, v[8:11], s[8:9] offset:24 glc
	s_waitcnt vmcnt(0)
	v_cmp_ne_u64_e32 vcc, v[10:11], v[14:15]
	s_and_b64 exec, exec, vcc
	s_cbranch_execz .LBB2_68
; %bb.66:                               ;   in Loop: Header=BB2_41 Depth=3
	s_mov_b64 s[4:5], 0
.LBB2_67:                               ;   Parent Loop BB2_13 Depth=1
                                        ;     Parent Loop BB2_27 Depth=2
                                        ;       Parent Loop BB2_41 Depth=3
                                        ; =>      This Inner Loop Header: Depth=4
	s_sleep 1
	global_store_dwordx2 v[12:13], v[10:11], off
	buffer_wbl2
	s_waitcnt vmcnt(0)
	global_atomic_cmpswap_x2 v[14:15], v47, v[8:11], s[8:9] offset:24 glc
	s_waitcnt vmcnt(0)
	v_cmp_eq_u64_e32 vcc, v[14:15], v[10:11]
	s_or_b64 s[4:5], vcc, s[4:5]
	v_pk_mov_b32 v[10:11], v[14:15], v[14:15] op_sel:[0,1]
	s_andn2_b64 exec, exec, s[4:5]
	s_cbranch_execnz .LBB2_67
.LBB2_68:                               ;   in Loop: Header=BB2_41 Depth=3
	s_or_b64 exec, exec, s[12:13]
	s_and_b64 vcc, exec, s[72:73]
	s_cbranch_vccz .LBB2_153
; %bb.69:                               ;   in Loop: Header=BB2_41 Depth=3
	s_waitcnt vmcnt(0)
	v_and_b32_e32 v8, -3, v6
	v_mov_b32_e32 v9, v7
	s_mov_b64 s[12:13], 45
	s_getpc_b64 s[10:11]
	s_add_u32 s10, s10, .str.3@rel32@lo+4
	s_addc_u32 s11, s11, .str.3@rel32@hi+12
	s_branch .LBB2_71
.LBB2_70:                               ;   in Loop: Header=BB2_71 Depth=4
	s_or_b64 exec, exec, s[18:19]
	s_sub_u32 s12, s12, s14
	s_subb_u32 s13, s13, s15
	s_add_u32 s10, s10, s14
	s_addc_u32 s11, s11, s15
	s_cmp_lg_u64 s[12:13], 0
	s_cbranch_scc0 .LBB2_152
.LBB2_71:                               ;   Parent Loop BB2_13 Depth=1
                                        ;     Parent Loop BB2_27 Depth=2
                                        ;       Parent Loop BB2_41 Depth=3
                                        ; =>      This Loop Header: Depth=4
                                        ;           Child Loop BB2_74 Depth 5
                                        ;           Child Loop BB2_81 Depth 5
	;; [unrolled: 1-line block ×11, first 2 shown]
	v_cmp_lt_u64_e64 s[4:5], s[12:13], 56
	s_and_b64 s[4:5], s[4:5], exec
	v_cmp_gt_u64_e64 s[4:5], s[12:13], 7
	s_cselect_b32 s15, s13, 0
	s_cselect_b32 s14, s12, 56
	s_and_b64 vcc, exec, s[4:5]
	s_cbranch_vccnz .LBB2_76
; %bb.72:                               ;   in Loop: Header=BB2_71 Depth=4
	s_mov_b64 s[4:5], 0
	s_cmp_eq_u64 s[12:13], 0
	s_waitcnt vmcnt(0)
	v_pk_mov_b32 v[10:11], 0, 0
	s_cbranch_scc1 .LBB2_75
; %bb.73:                               ;   in Loop: Header=BB2_71 Depth=4
	s_lshl_b64 s[16:17], s[14:15], 3
	s_mov_b64 s[18:19], 0
	v_pk_mov_b32 v[10:11], 0, 0
	s_mov_b64 s[20:21], s[10:11]
.LBB2_74:                               ;   Parent Loop BB2_13 Depth=1
                                        ;     Parent Loop BB2_27 Depth=2
                                        ;       Parent Loop BB2_41 Depth=3
                                        ;         Parent Loop BB2_71 Depth=4
                                        ; =>        This Inner Loop Header: Depth=5
	global_load_ubyte v3, v47, s[20:21]
	s_waitcnt vmcnt(0)
	v_and_b32_e32 v46, 0xffff, v3
	v_lshlrev_b64 v[12:13], s18, v[46:47]
	s_add_u32 s18, s18, 8
	s_addc_u32 s19, s19, 0
	s_add_u32 s20, s20, 1
	s_addc_u32 s21, s21, 0
	v_or_b32_e32 v10, v12, v10
	s_cmp_lg_u32 s16, s18
	v_or_b32_e32 v11, v13, v11
	s_cbranch_scc1 .LBB2_74
.LBB2_75:                               ;   in Loop: Header=BB2_71 Depth=4
	s_mov_b32 s20, 0
	s_andn2_b64 vcc, exec, s[4:5]
	s_mov_b64 s[4:5], s[10:11]
	s_cbranch_vccz .LBB2_77
	s_branch .LBB2_78
.LBB2_76:                               ;   in Loop: Header=BB2_71 Depth=4
                                        ; implicit-def: $sgpr20
	s_mov_b64 s[4:5], s[10:11]
.LBB2_77:                               ;   in Loop: Header=BB2_71 Depth=4
	global_load_dwordx2 v[10:11], v47, s[10:11]
	s_add_i32 s20, s14, -8
	s_add_u32 s4, s10, 8
	s_addc_u32 s5, s11, 0
.LBB2_78:                               ;   in Loop: Header=BB2_71 Depth=4
	s_cmp_gt_u32 s20, 7
	s_cbranch_scc1 .LBB2_82
; %bb.79:                               ;   in Loop: Header=BB2_71 Depth=4
	s_cmp_eq_u32 s20, 0
	s_cbranch_scc1 .LBB2_83
; %bb.80:                               ;   in Loop: Header=BB2_71 Depth=4
	s_mov_b64 s[16:17], 0
	v_pk_mov_b32 v[12:13], 0, 0
	s_mov_b64 s[18:19], 0
.LBB2_81:                               ;   Parent Loop BB2_13 Depth=1
                                        ;     Parent Loop BB2_27 Depth=2
                                        ;       Parent Loop BB2_41 Depth=3
                                        ;         Parent Loop BB2_71 Depth=4
                                        ; =>        This Inner Loop Header: Depth=5
	s_add_u32 s22, s4, s18
	s_addc_u32 s23, s5, s19
	global_load_ubyte v3, v47, s[22:23]
	s_add_u32 s18, s18, 1
	s_addc_u32 s19, s19, 0
	s_waitcnt vmcnt(0)
	v_and_b32_e32 v46, 0xffff, v3
	v_lshlrev_b64 v[14:15], s16, v[46:47]
	s_add_u32 s16, s16, 8
	s_addc_u32 s17, s17, 0
	v_or_b32_e32 v12, v14, v12
	s_cmp_lg_u32 s20, s18
	v_or_b32_e32 v13, v15, v13
	s_cbranch_scc1 .LBB2_81
	s_branch .LBB2_84
.LBB2_82:                               ;   in Loop: Header=BB2_71 Depth=4
                                        ; implicit-def: $vgpr12_vgpr13
                                        ; implicit-def: $sgpr21
	s_branch .LBB2_85
.LBB2_83:                               ;   in Loop: Header=BB2_71 Depth=4
	v_pk_mov_b32 v[12:13], 0, 0
.LBB2_84:                               ;   in Loop: Header=BB2_71 Depth=4
	s_mov_b32 s21, 0
	s_cbranch_execnz .LBB2_86
.LBB2_85:                               ;   in Loop: Header=BB2_71 Depth=4
	global_load_dwordx2 v[12:13], v47, s[4:5]
	s_add_i32 s21, s20, -8
	s_add_u32 s4, s4, 8
	s_addc_u32 s5, s5, 0
.LBB2_86:                               ;   in Loop: Header=BB2_71 Depth=4
	s_cmp_gt_u32 s21, 7
	s_cbranch_scc1 .LBB2_90
; %bb.87:                               ;   in Loop: Header=BB2_71 Depth=4
	s_cmp_eq_u32 s21, 0
	s_cbranch_scc1 .LBB2_91
; %bb.88:                               ;   in Loop: Header=BB2_71 Depth=4
	s_mov_b64 s[16:17], 0
	v_pk_mov_b32 v[14:15], 0, 0
	s_mov_b64 s[18:19], 0
.LBB2_89:                               ;   Parent Loop BB2_13 Depth=1
                                        ;     Parent Loop BB2_27 Depth=2
                                        ;       Parent Loop BB2_41 Depth=3
                                        ;         Parent Loop BB2_71 Depth=4
                                        ; =>        This Inner Loop Header: Depth=5
	s_add_u32 s22, s4, s18
	s_addc_u32 s23, s5, s19
	global_load_ubyte v3, v47, s[22:23]
	s_add_u32 s18, s18, 1
	s_addc_u32 s19, s19, 0
	s_waitcnt vmcnt(0)
	v_and_b32_e32 v46, 0xffff, v3
	v_lshlrev_b64 v[16:17], s16, v[46:47]
	s_add_u32 s16, s16, 8
	s_addc_u32 s17, s17, 0
	v_or_b32_e32 v14, v16, v14
	s_cmp_lg_u32 s21, s18
	v_or_b32_e32 v15, v17, v15
	s_cbranch_scc1 .LBB2_89
	s_branch .LBB2_92
.LBB2_90:                               ;   in Loop: Header=BB2_71 Depth=4
                                        ; implicit-def: $sgpr20
	s_branch .LBB2_93
.LBB2_91:                               ;   in Loop: Header=BB2_71 Depth=4
	v_pk_mov_b32 v[14:15], 0, 0
.LBB2_92:                               ;   in Loop: Header=BB2_71 Depth=4
	s_mov_b32 s20, 0
	s_cbranch_execnz .LBB2_94
.LBB2_93:                               ;   in Loop: Header=BB2_71 Depth=4
	global_load_dwordx2 v[14:15], v47, s[4:5]
	s_add_i32 s20, s21, -8
	s_add_u32 s4, s4, 8
	s_addc_u32 s5, s5, 0
.LBB2_94:                               ;   in Loop: Header=BB2_71 Depth=4
	s_cmp_gt_u32 s20, 7
	s_cbranch_scc1 .LBB2_98
; %bb.95:                               ;   in Loop: Header=BB2_71 Depth=4
	s_cmp_eq_u32 s20, 0
	s_cbranch_scc1 .LBB2_99
; %bb.96:                               ;   in Loop: Header=BB2_71 Depth=4
	s_mov_b64 s[16:17], 0
	v_pk_mov_b32 v[16:17], 0, 0
	s_mov_b64 s[18:19], 0
.LBB2_97:                               ;   Parent Loop BB2_13 Depth=1
                                        ;     Parent Loop BB2_27 Depth=2
                                        ;       Parent Loop BB2_41 Depth=3
                                        ;         Parent Loop BB2_71 Depth=4
                                        ; =>        This Inner Loop Header: Depth=5
	s_add_u32 s22, s4, s18
	s_addc_u32 s23, s5, s19
	global_load_ubyte v3, v47, s[22:23]
	s_add_u32 s18, s18, 1
	s_addc_u32 s19, s19, 0
	s_waitcnt vmcnt(0)
	v_and_b32_e32 v46, 0xffff, v3
	v_lshlrev_b64 v[18:19], s16, v[46:47]
	s_add_u32 s16, s16, 8
	s_addc_u32 s17, s17, 0
	v_or_b32_e32 v16, v18, v16
	s_cmp_lg_u32 s20, s18
	v_or_b32_e32 v17, v19, v17
	s_cbranch_scc1 .LBB2_97
	s_branch .LBB2_100
.LBB2_98:                               ;   in Loop: Header=BB2_71 Depth=4
                                        ; implicit-def: $vgpr16_vgpr17
                                        ; implicit-def: $sgpr21
	s_branch .LBB2_101
.LBB2_99:                               ;   in Loop: Header=BB2_71 Depth=4
	v_pk_mov_b32 v[16:17], 0, 0
.LBB2_100:                              ;   in Loop: Header=BB2_71 Depth=4
	s_mov_b32 s21, 0
	s_cbranch_execnz .LBB2_102
.LBB2_101:                              ;   in Loop: Header=BB2_71 Depth=4
	global_load_dwordx2 v[16:17], v47, s[4:5]
	s_add_i32 s21, s20, -8
	s_add_u32 s4, s4, 8
	s_addc_u32 s5, s5, 0
.LBB2_102:                              ;   in Loop: Header=BB2_71 Depth=4
	s_cmp_gt_u32 s21, 7
	s_cbranch_scc1 .LBB2_106
; %bb.103:                              ;   in Loop: Header=BB2_71 Depth=4
	s_cmp_eq_u32 s21, 0
	s_cbranch_scc1 .LBB2_107
; %bb.104:                              ;   in Loop: Header=BB2_71 Depth=4
	s_mov_b64 s[16:17], 0
	v_pk_mov_b32 v[18:19], 0, 0
	s_mov_b64 s[18:19], 0
.LBB2_105:                              ;   Parent Loop BB2_13 Depth=1
                                        ;     Parent Loop BB2_27 Depth=2
                                        ;       Parent Loop BB2_41 Depth=3
                                        ;         Parent Loop BB2_71 Depth=4
                                        ; =>        This Inner Loop Header: Depth=5
	s_add_u32 s22, s4, s18
	s_addc_u32 s23, s5, s19
	global_load_ubyte v3, v47, s[22:23]
	s_add_u32 s18, s18, 1
	s_addc_u32 s19, s19, 0
	s_waitcnt vmcnt(0)
	v_and_b32_e32 v46, 0xffff, v3
	v_lshlrev_b64 v[20:21], s16, v[46:47]
	s_add_u32 s16, s16, 8
	s_addc_u32 s17, s17, 0
	v_or_b32_e32 v18, v20, v18
	s_cmp_lg_u32 s21, s18
	v_or_b32_e32 v19, v21, v19
	s_cbranch_scc1 .LBB2_105
	s_branch .LBB2_108
.LBB2_106:                              ;   in Loop: Header=BB2_71 Depth=4
                                        ; implicit-def: $sgpr20
	s_branch .LBB2_109
.LBB2_107:                              ;   in Loop: Header=BB2_71 Depth=4
	v_pk_mov_b32 v[18:19], 0, 0
.LBB2_108:                              ;   in Loop: Header=BB2_71 Depth=4
	s_mov_b32 s20, 0
	s_cbranch_execnz .LBB2_110
.LBB2_109:                              ;   in Loop: Header=BB2_71 Depth=4
	global_load_dwordx2 v[18:19], v47, s[4:5]
	s_add_i32 s20, s21, -8
	s_add_u32 s4, s4, 8
	s_addc_u32 s5, s5, 0
.LBB2_110:                              ;   in Loop: Header=BB2_71 Depth=4
	s_cmp_gt_u32 s20, 7
	s_cbranch_scc1 .LBB2_114
; %bb.111:                              ;   in Loop: Header=BB2_71 Depth=4
	s_cmp_eq_u32 s20, 0
	s_cbranch_scc1 .LBB2_115
; %bb.112:                              ;   in Loop: Header=BB2_71 Depth=4
	s_mov_b64 s[16:17], 0
	v_pk_mov_b32 v[20:21], 0, 0
	s_mov_b64 s[18:19], 0
.LBB2_113:                              ;   Parent Loop BB2_13 Depth=1
                                        ;     Parent Loop BB2_27 Depth=2
                                        ;       Parent Loop BB2_41 Depth=3
                                        ;         Parent Loop BB2_71 Depth=4
                                        ; =>        This Inner Loop Header: Depth=5
	s_add_u32 s22, s4, s18
	s_addc_u32 s23, s5, s19
	global_load_ubyte v3, v47, s[22:23]
	s_add_u32 s18, s18, 1
	s_addc_u32 s19, s19, 0
	s_waitcnt vmcnt(0)
	v_and_b32_e32 v46, 0xffff, v3
	v_lshlrev_b64 v[22:23], s16, v[46:47]
	s_add_u32 s16, s16, 8
	s_addc_u32 s17, s17, 0
	v_or_b32_e32 v20, v22, v20
	s_cmp_lg_u32 s20, s18
	v_or_b32_e32 v21, v23, v21
	s_cbranch_scc1 .LBB2_113
	s_branch .LBB2_116
.LBB2_114:                              ;   in Loop: Header=BB2_71 Depth=4
                                        ; implicit-def: $vgpr20_vgpr21
                                        ; implicit-def: $sgpr21
	s_branch .LBB2_117
.LBB2_115:                              ;   in Loop: Header=BB2_71 Depth=4
	v_pk_mov_b32 v[20:21], 0, 0
.LBB2_116:                              ;   in Loop: Header=BB2_71 Depth=4
	s_mov_b32 s21, 0
	s_cbranch_execnz .LBB2_118
.LBB2_117:                              ;   in Loop: Header=BB2_71 Depth=4
	global_load_dwordx2 v[20:21], v47, s[4:5]
	s_add_i32 s21, s20, -8
	s_add_u32 s4, s4, 8
	s_addc_u32 s5, s5, 0
.LBB2_118:                              ;   in Loop: Header=BB2_71 Depth=4
	s_cmp_gt_u32 s21, 7
	s_cbranch_scc1 .LBB2_122
; %bb.119:                              ;   in Loop: Header=BB2_71 Depth=4
	s_cmp_eq_u32 s21, 0
	s_cbranch_scc1 .LBB2_123
; %bb.120:                              ;   in Loop: Header=BB2_71 Depth=4
	s_mov_b64 s[16:17], 0
	v_pk_mov_b32 v[22:23], 0, 0
	s_mov_b64 s[18:19], s[4:5]
.LBB2_121:                              ;   Parent Loop BB2_13 Depth=1
                                        ;     Parent Loop BB2_27 Depth=2
                                        ;       Parent Loop BB2_41 Depth=3
                                        ;         Parent Loop BB2_71 Depth=4
                                        ; =>        This Inner Loop Header: Depth=5
	global_load_ubyte v3, v47, s[18:19]
	s_add_i32 s21, s21, -1
	s_waitcnt vmcnt(0)
	v_and_b32_e32 v46, 0xffff, v3
	v_lshlrev_b64 v[24:25], s16, v[46:47]
	s_add_u32 s16, s16, 8
	s_addc_u32 s17, s17, 0
	s_add_u32 s18, s18, 1
	s_addc_u32 s19, s19, 0
	v_or_b32_e32 v22, v24, v22
	s_cmp_lg_u32 s21, 0
	v_or_b32_e32 v23, v25, v23
	s_cbranch_scc1 .LBB2_121
	s_branch .LBB2_124
.LBB2_122:                              ;   in Loop: Header=BB2_71 Depth=4
	s_branch .LBB2_125
.LBB2_123:                              ;   in Loop: Header=BB2_71 Depth=4
	v_pk_mov_b32 v[22:23], 0, 0
.LBB2_124:                              ;   in Loop: Header=BB2_71 Depth=4
	s_cbranch_execnz .LBB2_126
.LBB2_125:                              ;   in Loop: Header=BB2_71 Depth=4
	global_load_dwordx2 v[22:23], v47, s[4:5]
.LBB2_126:                              ;   in Loop: Header=BB2_71 Depth=4
	v_readfirstlane_b32 s4, v98
	v_cmp_eq_u32_e64 s[4:5], s4, v98
	v_pk_mov_b32 v[28:29], 0, 0
	s_and_saveexec_b64 s[16:17], s[4:5]
	s_cbranch_execz .LBB2_132
; %bb.127:                              ;   in Loop: Header=BB2_71 Depth=4
	global_load_dwordx2 v[26:27], v47, s[8:9] offset:24 glc
	s_waitcnt vmcnt(0)
	buffer_invl2
	buffer_wbinvl1_vol
	global_load_dwordx2 v[24:25], v47, s[8:9] offset:40
	global_load_dwordx2 v[28:29], v47, s[8:9]
	s_waitcnt vmcnt(1)
	v_and_b32_e32 v3, v24, v26
	v_and_b32_e32 v24, v25, v27
	v_mul_lo_u32 v24, v24, 24
	v_mul_hi_u32 v25, v3, 24
	v_mul_lo_u32 v3, v3, 24
	v_add_u32_e32 v25, v25, v24
	s_waitcnt vmcnt(0)
	v_add_co_u32_e32 v24, vcc, v28, v3
	v_addc_co_u32_e32 v25, vcc, v29, v25, vcc
	global_load_dwordx2 v[24:25], v[24:25], off glc
	s_waitcnt vmcnt(0)
	global_atomic_cmpswap_x2 v[28:29], v47, v[24:27], s[8:9] offset:24 glc
	s_waitcnt vmcnt(0)
	buffer_invl2
	buffer_wbinvl1_vol
	v_cmp_ne_u64_e32 vcc, v[28:29], v[26:27]
	s_and_saveexec_b64 s[18:19], vcc
	s_cbranch_execz .LBB2_131
; %bb.128:                              ;   in Loop: Header=BB2_71 Depth=4
	s_mov_b64 s[20:21], 0
.LBB2_129:                              ;   Parent Loop BB2_13 Depth=1
                                        ;     Parent Loop BB2_27 Depth=2
                                        ;       Parent Loop BB2_41 Depth=3
                                        ;         Parent Loop BB2_71 Depth=4
                                        ; =>        This Inner Loop Header: Depth=5
	s_sleep 1
	global_load_dwordx2 v[24:25], v47, s[8:9] offset:40
	global_load_dwordx2 v[30:31], v47, s[8:9]
	v_pk_mov_b32 v[26:27], v[28:29], v[28:29] op_sel:[0,1]
	s_waitcnt vmcnt(1)
	v_and_b32_e32 v24, v24, v26
	v_and_b32_e32 v3, v25, v27
	s_waitcnt vmcnt(0)
	v_mad_u64_u32 v[24:25], s[22:23], v24, 24, v[30:31]
	v_mov_b32_e32 v28, v25
	v_mad_u64_u32 v[28:29], s[22:23], v3, 24, v[28:29]
	v_mov_b32_e32 v25, v28
	global_load_dwordx2 v[24:25], v[24:25], off glc
	s_waitcnt vmcnt(0)
	global_atomic_cmpswap_x2 v[28:29], v47, v[24:27], s[8:9] offset:24 glc
	s_waitcnt vmcnt(0)
	buffer_invl2
	buffer_wbinvl1_vol
	v_cmp_eq_u64_e32 vcc, v[28:29], v[26:27]
	s_or_b64 s[20:21], vcc, s[20:21]
	s_andn2_b64 exec, exec, s[20:21]
	s_cbranch_execnz .LBB2_129
; %bb.130:                              ;   in Loop: Header=BB2_71 Depth=4
	s_or_b64 exec, exec, s[20:21]
.LBB2_131:                              ;   in Loop: Header=BB2_71 Depth=4
	s_or_b64 exec, exec, s[18:19]
.LBB2_132:                              ;   in Loop: Header=BB2_71 Depth=4
	s_or_b64 exec, exec, s[16:17]
	global_load_dwordx2 v[30:31], v47, s[8:9] offset:40
	global_load_dwordx4 v[24:27], v47, s[8:9]
	v_readfirstlane_b32 s16, v28
	v_readfirstlane_b32 s17, v29
	s_mov_b64 s[18:19], exec
	s_waitcnt vmcnt(1)
	v_readfirstlane_b32 s20, v30
	v_readfirstlane_b32 s21, v31
	s_and_b64 s[20:21], s[16:17], s[20:21]
	s_mul_i32 s22, s21, 24
	s_mul_hi_u32 s23, s20, 24
	s_mul_i32 s24, s20, 24
	s_add_i32 s22, s23, s22
	v_mov_b32_e32 v3, s22
	s_waitcnt vmcnt(0)
	v_add_co_u32_e32 v28, vcc, s24, v24
	v_addc_co_u32_e32 v29, vcc, v25, v3, vcc
	s_and_saveexec_b64 s[22:23], s[4:5]
	s_cbranch_execz .LBB2_134
; %bb.133:                              ;   in Loop: Header=BB2_71 Depth=4
	v_pk_mov_b32 v[56:57], s[18:19], s[18:19] op_sel:[0,1]
	global_store_dwordx4 v[28:29], v[56:59], off offset:8
.LBB2_134:                              ;   in Loop: Header=BB2_71 Depth=4
	s_or_b64 exec, exec, s[22:23]
	s_lshl_b64 s[18:19], s[20:21], 12
	v_mov_b32_e32 v3, s19
	v_add_co_u32_e32 v26, vcc, s18, v26
	v_addc_co_u32_e32 v3, vcc, v27, v3, vcc
	v_or_b32_e32 v27, 2, v8
	v_cmp_gt_u64_e64 vcc, s[12:13], 56
	s_lshl_b32 s18, s14, 2
	v_cndmask_b32_e32 v8, v27, v8, vcc
	s_add_i32 s18, s18, 28
	s_and_b32 s18, s18, 0x1e0
	v_and_b32_e32 v8, 0xffffff1f, v8
	v_or_b32_e32 v8, s18, v8
	v_readfirstlane_b32 s18, v26
	v_readfirstlane_b32 s19, v3
	s_nop 4
	global_store_dwordx4 v5, v[8:11], s[18:19]
	global_store_dwordx4 v5, v[12:15], s[18:19] offset:16
	global_store_dwordx4 v5, v[16:19], s[18:19] offset:32
	;; [unrolled: 1-line block ×3, first 2 shown]
	s_and_saveexec_b64 s[18:19], s[4:5]
	s_cbranch_execz .LBB2_142
; %bb.135:                              ;   in Loop: Header=BB2_71 Depth=4
	global_load_dwordx2 v[16:17], v47, s[8:9] offset:32 glc
	global_load_dwordx2 v[8:9], v47, s[8:9] offset:40
	v_mov_b32_e32 v14, s16
	v_mov_b32_e32 v15, s17
	s_waitcnt vmcnt(0)
	v_readfirstlane_b32 s20, v8
	v_readfirstlane_b32 s21, v9
	s_and_b64 s[20:21], s[20:21], s[16:17]
	s_mul_i32 s21, s21, 24
	s_mul_hi_u32 s22, s20, 24
	s_mul_i32 s20, s20, 24
	s_add_i32 s21, s22, s21
	v_mov_b32_e32 v8, s21
	v_add_co_u32_e32 v12, vcc, s20, v24
	v_addc_co_u32_e32 v13, vcc, v25, v8, vcc
	global_store_dwordx2 v[12:13], v[16:17], off
	buffer_wbl2
	s_waitcnt vmcnt(0)
	global_atomic_cmpswap_x2 v[10:11], v47, v[14:17], s[8:9] offset:32 glc
	s_waitcnt vmcnt(0)
	v_cmp_ne_u64_e32 vcc, v[10:11], v[16:17]
	s_and_saveexec_b64 s[20:21], vcc
	s_cbranch_execz .LBB2_138
; %bb.136:                              ;   in Loop: Header=BB2_71 Depth=4
	s_mov_b64 s[22:23], 0
.LBB2_137:                              ;   Parent Loop BB2_13 Depth=1
                                        ;     Parent Loop BB2_27 Depth=2
                                        ;       Parent Loop BB2_41 Depth=3
                                        ;         Parent Loop BB2_71 Depth=4
                                        ; =>        This Inner Loop Header: Depth=5
	s_sleep 1
	global_store_dwordx2 v[12:13], v[10:11], off
	v_mov_b32_e32 v8, s16
	v_mov_b32_e32 v9, s17
	buffer_wbl2
	s_waitcnt vmcnt(0)
	global_atomic_cmpswap_x2 v[8:9], v47, v[8:11], s[8:9] offset:32 glc
	s_waitcnt vmcnt(0)
	v_cmp_eq_u64_e32 vcc, v[8:9], v[10:11]
	s_or_b64 s[22:23], vcc, s[22:23]
	v_pk_mov_b32 v[10:11], v[8:9], v[8:9] op_sel:[0,1]
	s_andn2_b64 exec, exec, s[22:23]
	s_cbranch_execnz .LBB2_137
.LBB2_138:                              ;   in Loop: Header=BB2_71 Depth=4
	s_or_b64 exec, exec, s[20:21]
	global_load_dwordx2 v[8:9], v47, s[8:9] offset:16
	s_mov_b64 s[22:23], exec
	v_mbcnt_lo_u32_b32 v10, s22, 0
	v_mbcnt_hi_u32_b32 v10, s23, v10
	v_cmp_eq_u32_e32 vcc, 0, v10
	s_and_saveexec_b64 s[20:21], vcc
	s_cbranch_execz .LBB2_140
; %bb.139:                              ;   in Loop: Header=BB2_71 Depth=4
	s_bcnt1_i32_b64 s22, s[22:23]
	v_mov_b32_e32 v46, s22
	buffer_wbl2
	s_waitcnt vmcnt(0)
	global_atomic_add_x2 v[8:9], v[46:47], off offset:8
.LBB2_140:                              ;   in Loop: Header=BB2_71 Depth=4
	s_or_b64 exec, exec, s[20:21]
	s_waitcnt vmcnt(0)
	global_load_dwordx2 v[10:11], v[8:9], off offset:16
	s_waitcnt vmcnt(0)
	v_cmp_eq_u64_e32 vcc, 0, v[10:11]
	s_cbranch_vccnz .LBB2_142
; %bb.141:                              ;   in Loop: Header=BB2_71 Depth=4
	global_load_dword v46, v[8:9], off offset:24
	s_waitcnt vmcnt(0)
	v_and_b32_e32 v8, 0xffffff, v46
	v_readfirstlane_b32 m0, v8
	buffer_wbl2
	global_store_dwordx2 v[10:11], v[46:47], off
	s_sendmsg sendmsg(MSG_INTERRUPT)
.LBB2_142:                              ;   in Loop: Header=BB2_71 Depth=4
	s_or_b64 exec, exec, s[18:19]
	v_add_co_u32_e32 v8, vcc, v26, v5
	v_addc_co_u32_e32 v9, vcc, 0, v3, vcc
	s_branch .LBB2_146
.LBB2_143:                              ;   in Loop: Header=BB2_146 Depth=5
	s_or_b64 exec, exec, s[18:19]
	v_readfirstlane_b32 s18, v3
	s_cmp_eq_u32 s18, 0
	s_cbranch_scc1 .LBB2_145
; %bb.144:                              ;   in Loop: Header=BB2_146 Depth=5
	s_sleep 1
	s_cbranch_execnz .LBB2_146
	s_branch .LBB2_148
.LBB2_145:                              ;   in Loop: Header=BB2_71 Depth=4
	s_branch .LBB2_148
.LBB2_146:                              ;   Parent Loop BB2_13 Depth=1
                                        ;     Parent Loop BB2_27 Depth=2
                                        ;       Parent Loop BB2_41 Depth=3
                                        ;         Parent Loop BB2_71 Depth=4
                                        ; =>        This Inner Loop Header: Depth=5
	v_mov_b32_e32 v3, 1
	s_and_saveexec_b64 s[18:19], s[4:5]
	s_cbranch_execz .LBB2_143
; %bb.147:                              ;   in Loop: Header=BB2_146 Depth=5
	global_load_dword v3, v[28:29], off offset:20 glc
	s_waitcnt vmcnt(0)
	buffer_invl2
	buffer_wbinvl1_vol
	v_and_b32_e32 v3, 1, v3
	s_branch .LBB2_143
.LBB2_148:                              ;   in Loop: Header=BB2_71 Depth=4
	global_load_dwordx4 v[8:11], v[8:9], off
	s_and_saveexec_b64 s[18:19], s[4:5]
	s_cbranch_execz .LBB2_70
; %bb.149:                              ;   in Loop: Header=BB2_71 Depth=4
	global_load_dwordx2 v[14:15], v47, s[8:9] offset:40
	global_load_dwordx2 v[16:17], v47, s[8:9] offset:24 glc
	global_load_dwordx2 v[18:19], v47, s[8:9]
	v_mov_b32_e32 v3, s17
	s_waitcnt vmcnt(2)
	v_add_co_u32_e32 v13, vcc, 1, v14
	v_addc_co_u32_e32 v20, vcc, 0, v15, vcc
	v_add_co_u32_e32 v10, vcc, s16, v13
	v_addc_co_u32_e32 v11, vcc, v20, v3, vcc
	v_cmp_eq_u64_e32 vcc, 0, v[10:11]
	v_cndmask_b32_e32 v11, v11, v20, vcc
	v_cndmask_b32_e32 v10, v10, v13, vcc
	v_and_b32_e32 v3, v11, v15
	v_and_b32_e32 v13, v10, v14
	v_mul_lo_u32 v3, v3, 24
	v_mul_hi_u32 v14, v13, 24
	v_mul_lo_u32 v13, v13, 24
	v_add_u32_e32 v3, v14, v3
	s_waitcnt vmcnt(0)
	v_add_co_u32_e32 v14, vcc, v18, v13
	v_addc_co_u32_e32 v15, vcc, v19, v3, vcc
	v_mov_b32_e32 v12, v16
	global_store_dwordx2 v[14:15], v[16:17], off
	v_mov_b32_e32 v13, v17
	buffer_wbl2
	s_waitcnt vmcnt(0)
	global_atomic_cmpswap_x2 v[12:13], v47, v[10:13], s[8:9] offset:24 glc
	s_waitcnt vmcnt(0)
	v_cmp_ne_u64_e32 vcc, v[12:13], v[16:17]
	s_and_b64 exec, exec, vcc
	s_cbranch_execz .LBB2_70
; %bb.150:                              ;   in Loop: Header=BB2_71 Depth=4
	s_mov_b64 s[4:5], 0
.LBB2_151:                              ;   Parent Loop BB2_13 Depth=1
                                        ;     Parent Loop BB2_27 Depth=2
                                        ;       Parent Loop BB2_41 Depth=3
                                        ;         Parent Loop BB2_71 Depth=4
                                        ; =>        This Inner Loop Header: Depth=5
	s_sleep 1
	global_store_dwordx2 v[14:15], v[12:13], off
	buffer_wbl2
	s_waitcnt vmcnt(0)
	global_atomic_cmpswap_x2 v[16:17], v47, v[10:13], s[8:9] offset:24 glc
	s_waitcnt vmcnt(0)
	v_cmp_eq_u64_e32 vcc, v[16:17], v[12:13]
	s_or_b64 s[4:5], vcc, s[4:5]
	v_pk_mov_b32 v[12:13], v[16:17], v[16:17] op_sel:[0,1]
	s_andn2_b64 exec, exec, s[4:5]
	s_cbranch_execnz .LBB2_151
	s_branch .LBB2_70
.LBB2_152:                              ;   in Loop: Header=BB2_41 Depth=3
	s_branch .LBB2_180
.LBB2_153:                              ;   in Loop: Header=BB2_41 Depth=3
	s_cbranch_execz .LBB2_180
; %bb.154:                              ;   in Loop: Header=BB2_41 Depth=3
	v_readfirstlane_b32 s4, v98
	v_cmp_eq_u32_e64 s[4:5], s4, v98
	s_waitcnt vmcnt(0)
	v_pk_mov_b32 v[8:9], 0, 0
	s_and_saveexec_b64 s[10:11], s[4:5]
	s_cbranch_execz .LBB2_160
; %bb.155:                              ;   in Loop: Header=BB2_41 Depth=3
	global_load_dwordx2 v[10:11], v47, s[8:9] offset:24 glc
	s_waitcnt vmcnt(0)
	buffer_invl2
	buffer_wbinvl1_vol
	global_load_dwordx2 v[8:9], v47, s[8:9] offset:40
	global_load_dwordx2 v[12:13], v47, s[8:9]
	s_waitcnt vmcnt(1)
	v_and_b32_e32 v3, v8, v10
	v_and_b32_e32 v8, v9, v11
	v_mul_lo_u32 v8, v8, 24
	v_mul_hi_u32 v9, v3, 24
	v_mul_lo_u32 v3, v3, 24
	v_add_u32_e32 v9, v9, v8
	s_waitcnt vmcnt(0)
	v_add_co_u32_e32 v8, vcc, v12, v3
	v_addc_co_u32_e32 v9, vcc, v13, v9, vcc
	global_load_dwordx2 v[8:9], v[8:9], off glc
	s_waitcnt vmcnt(0)
	global_atomic_cmpswap_x2 v[8:9], v47, v[8:11], s[8:9] offset:24 glc
	s_waitcnt vmcnt(0)
	buffer_invl2
	buffer_wbinvl1_vol
	v_cmp_ne_u64_e32 vcc, v[8:9], v[10:11]
	s_and_saveexec_b64 s[12:13], vcc
	s_cbranch_execz .LBB2_159
; %bb.156:                              ;   in Loop: Header=BB2_41 Depth=3
	s_mov_b64 s[14:15], 0
.LBB2_157:                              ;   Parent Loop BB2_13 Depth=1
                                        ;     Parent Loop BB2_27 Depth=2
                                        ;       Parent Loop BB2_41 Depth=3
                                        ; =>      This Inner Loop Header: Depth=4
	s_sleep 1
	global_load_dwordx2 v[12:13], v47, s[8:9] offset:40
	global_load_dwordx2 v[14:15], v47, s[8:9]
	v_pk_mov_b32 v[10:11], v[8:9], v[8:9] op_sel:[0,1]
	s_waitcnt vmcnt(1)
	v_and_b32_e32 v8, v12, v10
	s_waitcnt vmcnt(0)
	v_mad_u64_u32 v[8:9], s[16:17], v8, 24, v[14:15]
	v_and_b32_e32 v3, v13, v11
	v_mov_b32_e32 v12, v9
	v_mad_u64_u32 v[12:13], s[16:17], v3, 24, v[12:13]
	v_mov_b32_e32 v9, v12
	global_load_dwordx2 v[8:9], v[8:9], off glc
	s_waitcnt vmcnt(0)
	global_atomic_cmpswap_x2 v[8:9], v47, v[8:11], s[8:9] offset:24 glc
	s_waitcnt vmcnt(0)
	buffer_invl2
	buffer_wbinvl1_vol
	v_cmp_eq_u64_e32 vcc, v[8:9], v[10:11]
	s_or_b64 s[14:15], vcc, s[14:15]
	s_andn2_b64 exec, exec, s[14:15]
	s_cbranch_execnz .LBB2_157
; %bb.158:                              ;   in Loop: Header=BB2_41 Depth=3
	s_or_b64 exec, exec, s[14:15]
.LBB2_159:                              ;   in Loop: Header=BB2_41 Depth=3
	s_or_b64 exec, exec, s[12:13]
.LBB2_160:                              ;   in Loop: Header=BB2_41 Depth=3
	s_or_b64 exec, exec, s[10:11]
	global_load_dwordx2 v[14:15], v47, s[8:9] offset:40
	global_load_dwordx4 v[10:13], v47, s[8:9]
	v_readfirstlane_b32 s10, v8
	v_readfirstlane_b32 s11, v9
	s_mov_b64 s[12:13], exec
	s_waitcnt vmcnt(1)
	v_readfirstlane_b32 s14, v14
	v_readfirstlane_b32 s15, v15
	s_and_b64 s[14:15], s[10:11], s[14:15]
	s_mul_i32 s16, s15, 24
	s_mul_hi_u32 s17, s14, 24
	s_mul_i32 s18, s14, 24
	s_add_i32 s16, s17, s16
	v_mov_b32_e32 v3, s16
	s_waitcnt vmcnt(0)
	v_add_co_u32_e32 v14, vcc, s18, v10
	v_addc_co_u32_e32 v15, vcc, v11, v3, vcc
	s_and_saveexec_b64 s[16:17], s[4:5]
	s_cbranch_execz .LBB2_162
; %bb.161:                              ;   in Loop: Header=BB2_41 Depth=3
	v_pk_mov_b32 v[56:57], s[12:13], s[12:13] op_sel:[0,1]
	global_store_dwordx4 v[14:15], v[56:59], off offset:8
.LBB2_162:                              ;   in Loop: Header=BB2_41 Depth=3
	s_or_b64 exec, exec, s[16:17]
	s_lshl_b64 s[12:13], s[14:15], 12
	v_mov_b32_e32 v3, s13
	v_add_co_u32_e32 v12, vcc, s12, v12
	v_addc_co_u32_e32 v3, vcc, v13, v3, vcc
	v_and_or_b32 v6, v6, s37, 34
	v_mov_b32_e32 v8, v47
	v_mov_b32_e32 v9, v47
	v_readfirstlane_b32 s12, v12
	v_readfirstlane_b32 s13, v3
	s_mov_b32 s61, s60
	s_mov_b32 s62, s60
	;; [unrolled: 1-line block ×3, first 2 shown]
	s_nop 1
	global_store_dwordx4 v5, v[6:9], s[12:13]
	s_nop 0
	v_pk_mov_b32 v[6:7], s[60:61], s[60:61] op_sel:[0,1]
	v_pk_mov_b32 v[8:9], s[62:63], s[62:63] op_sel:[0,1]
	global_store_dwordx4 v5, v[6:9], s[12:13] offset:16
	global_store_dwordx4 v5, v[6:9], s[12:13] offset:32
	;; [unrolled: 1-line block ×3, first 2 shown]
	s_and_saveexec_b64 s[12:13], s[4:5]
	s_cbranch_execz .LBB2_170
; %bb.163:                              ;   in Loop: Header=BB2_41 Depth=3
	global_load_dwordx2 v[18:19], v47, s[8:9] offset:32 glc
	global_load_dwordx2 v[6:7], v47, s[8:9] offset:40
	v_mov_b32_e32 v16, s10
	v_mov_b32_e32 v17, s11
	s_waitcnt vmcnt(0)
	v_readfirstlane_b32 s14, v6
	v_readfirstlane_b32 s15, v7
	s_and_b64 s[14:15], s[14:15], s[10:11]
	s_mul_i32 s15, s15, 24
	s_mul_hi_u32 s16, s14, 24
	s_mul_i32 s14, s14, 24
	s_add_i32 s15, s16, s15
	v_mov_b32_e32 v3, s15
	v_add_co_u32_e32 v10, vcc, s14, v10
	v_addc_co_u32_e32 v11, vcc, v11, v3, vcc
	global_store_dwordx2 v[10:11], v[18:19], off
	buffer_wbl2
	s_waitcnt vmcnt(0)
	global_atomic_cmpswap_x2 v[8:9], v47, v[16:19], s[8:9] offset:32 glc
	s_waitcnt vmcnt(0)
	v_cmp_ne_u64_e32 vcc, v[8:9], v[18:19]
	s_and_saveexec_b64 s[14:15], vcc
	s_cbranch_execz .LBB2_166
; %bb.164:                              ;   in Loop: Header=BB2_41 Depth=3
	s_mov_b64 s[16:17], 0
.LBB2_165:                              ;   Parent Loop BB2_13 Depth=1
                                        ;     Parent Loop BB2_27 Depth=2
                                        ;       Parent Loop BB2_41 Depth=3
                                        ; =>      This Inner Loop Header: Depth=4
	s_sleep 1
	global_store_dwordx2 v[10:11], v[8:9], off
	v_mov_b32_e32 v6, s10
	v_mov_b32_e32 v7, s11
	buffer_wbl2
	s_waitcnt vmcnt(0)
	global_atomic_cmpswap_x2 v[6:7], v47, v[6:9], s[8:9] offset:32 glc
	s_waitcnt vmcnt(0)
	v_cmp_eq_u64_e32 vcc, v[6:7], v[8:9]
	s_or_b64 s[16:17], vcc, s[16:17]
	v_pk_mov_b32 v[8:9], v[6:7], v[6:7] op_sel:[0,1]
	s_andn2_b64 exec, exec, s[16:17]
	s_cbranch_execnz .LBB2_165
.LBB2_166:                              ;   in Loop: Header=BB2_41 Depth=3
	s_or_b64 exec, exec, s[14:15]
	global_load_dwordx2 v[6:7], v47, s[8:9] offset:16
	s_mov_b64 s[16:17], exec
	v_mbcnt_lo_u32_b32 v3, s16, 0
	v_mbcnt_hi_u32_b32 v3, s17, v3
	v_cmp_eq_u32_e32 vcc, 0, v3
	s_and_saveexec_b64 s[14:15], vcc
	s_cbranch_execz .LBB2_168
; %bb.167:                              ;   in Loop: Header=BB2_41 Depth=3
	s_bcnt1_i32_b64 s16, s[16:17]
	v_mov_b32_e32 v46, s16
	buffer_wbl2
	s_waitcnt vmcnt(0)
	global_atomic_add_x2 v[6:7], v[46:47], off offset:8
.LBB2_168:                              ;   in Loop: Header=BB2_41 Depth=3
	s_or_b64 exec, exec, s[14:15]
	s_waitcnt vmcnt(0)
	global_load_dwordx2 v[8:9], v[6:7], off offset:16
	s_waitcnt vmcnt(0)
	v_cmp_eq_u64_e32 vcc, 0, v[8:9]
	s_cbranch_vccnz .LBB2_170
; %bb.169:                              ;   in Loop: Header=BB2_41 Depth=3
	global_load_dword v46, v[6:7], off offset:24
	s_waitcnt vmcnt(0)
	v_and_b32_e32 v3, 0xffffff, v46
	v_readfirstlane_b32 m0, v3
	buffer_wbl2
	global_store_dwordx2 v[8:9], v[46:47], off
	s_sendmsg sendmsg(MSG_INTERRUPT)
.LBB2_170:                              ;   in Loop: Header=BB2_41 Depth=3
	s_or_b64 exec, exec, s[12:13]
	s_branch .LBB2_174
.LBB2_171:                              ;   in Loop: Header=BB2_174 Depth=4
	s_or_b64 exec, exec, s[12:13]
	v_readfirstlane_b32 s12, v3
	s_cmp_eq_u32 s12, 0
	s_cbranch_scc1 .LBB2_173
; %bb.172:                              ;   in Loop: Header=BB2_174 Depth=4
	s_sleep 1
	s_cbranch_execnz .LBB2_174
	s_branch .LBB2_176
.LBB2_173:                              ;   in Loop: Header=BB2_41 Depth=3
	s_branch .LBB2_176
.LBB2_174:                              ;   Parent Loop BB2_13 Depth=1
                                        ;     Parent Loop BB2_27 Depth=2
                                        ;       Parent Loop BB2_41 Depth=3
                                        ; =>      This Inner Loop Header: Depth=4
	v_mov_b32_e32 v3, 1
	s_and_saveexec_b64 s[12:13], s[4:5]
	s_cbranch_execz .LBB2_171
; %bb.175:                              ;   in Loop: Header=BB2_174 Depth=4
	global_load_dword v3, v[14:15], off offset:20 glc
	s_waitcnt vmcnt(0)
	buffer_invl2
	buffer_wbinvl1_vol
	v_and_b32_e32 v3, 1, v3
	s_branch .LBB2_171
.LBB2_176:                              ;   in Loop: Header=BB2_41 Depth=3
	s_and_b64 exec, exec, s[4:5]
	s_cbranch_execz .LBB2_180
; %bb.177:                              ;   in Loop: Header=BB2_41 Depth=3
	global_load_dwordx2 v[10:11], v47, s[8:9] offset:40
	global_load_dwordx2 v[12:13], v47, s[8:9] offset:24 glc
	global_load_dwordx2 v[14:15], v47, s[8:9]
	v_mov_b32_e32 v3, s11
	s_waitcnt vmcnt(2)
	v_add_co_u32_e32 v5, vcc, 1, v10
	v_addc_co_u32_e32 v9, vcc, 0, v11, vcc
	v_add_co_u32_e32 v6, vcc, s10, v5
	v_addc_co_u32_e32 v7, vcc, v9, v3, vcc
	v_cmp_eq_u64_e32 vcc, 0, v[6:7]
	v_cndmask_b32_e32 v7, v7, v9, vcc
	v_cndmask_b32_e32 v6, v6, v5, vcc
	v_and_b32_e32 v3, v7, v11
	v_and_b32_e32 v5, v6, v10
	v_mul_lo_u32 v3, v3, 24
	v_mul_hi_u32 v9, v5, 24
	v_mul_lo_u32 v5, v5, 24
	v_add_u32_e32 v3, v9, v3
	s_waitcnt vmcnt(0)
	v_add_co_u32_e32 v10, vcc, v14, v5
	v_addc_co_u32_e32 v11, vcc, v15, v3, vcc
	v_mov_b32_e32 v8, v12
	global_store_dwordx2 v[10:11], v[12:13], off
	v_mov_b32_e32 v9, v13
	buffer_wbl2
	s_waitcnt vmcnt(0)
	global_atomic_cmpswap_x2 v[8:9], v47, v[6:9], s[8:9] offset:24 glc
	s_waitcnt vmcnt(0)
	v_cmp_ne_u64_e32 vcc, v[8:9], v[12:13]
	s_and_b64 exec, exec, vcc
	s_cbranch_execz .LBB2_180
; %bb.178:                              ;   in Loop: Header=BB2_41 Depth=3
	s_mov_b64 s[4:5], 0
.LBB2_179:                              ;   Parent Loop BB2_13 Depth=1
                                        ;     Parent Loop BB2_27 Depth=2
                                        ;       Parent Loop BB2_41 Depth=3
                                        ; =>      This Inner Loop Header: Depth=4
	s_sleep 1
	global_store_dwordx2 v[10:11], v[8:9], off
	buffer_wbl2
	s_waitcnt vmcnt(0)
	global_atomic_cmpswap_x2 v[12:13], v47, v[6:9], s[8:9] offset:24 glc
	s_waitcnt vmcnt(0)
	v_cmp_eq_u64_e32 vcc, v[12:13], v[8:9]
	s_or_b64 s[4:5], vcc, s[4:5]
	v_pk_mov_b32 v[8:9], v[12:13], v[12:13] op_sel:[0,1]
	s_andn2_b64 exec, exec, s[4:5]
	s_cbranch_execnz .LBB2_179
.LBB2_180:                              ;   in Loop: Header=BB2_41 Depth=3
	s_or_b64 exec, exec, s[6:7]
	s_waitcnt vmcnt(0)
	v_add_co_u32_e32 v6, vcc, v108, v2
	v_addc_co_u32_e32 v7, vcc, 0, v109, vcc
	global_load_ubyte v5, v[6:7], off
	s_waitcnt vmcnt(0)
	v_cmp_ne_u16_e32 vcc, s88, v5
	s_and_saveexec_b64 s[4:5], vcc
	s_cbranch_execz .LBB2_40
; %bb.181:                              ;   in Loop: Header=BB2_41 Depth=3
	v_add_co_u32_e32 v2, vcc, v110, v2
	v_addc_co_u32_e32 v3, vcc, 0, v111, vcc
	global_load_sbyte v2, v[2:3], off
	s_waitcnt vmcnt(0)
	v_subrev_u32_e32 v6, s33, v2
	v_cmp_lt_i32_e32 vcc, 9, v6
	s_and_saveexec_b64 s[6:7], vcc
	s_cbranch_execz .LBB2_186
; %bb.182:                              ;   in Loop: Header=BB2_41 Depth=3
	v_cmp_lt_i16_e32 vcc, s89, v5
	s_mov_b64 s[8:9], 0
                                        ; implicit-def: $vgpr2_vgpr3
	s_and_saveexec_b64 s[10:11], vcc
	s_xor_b64 s[10:11], exec, s[10:11]
	s_cbranch_execnz .LBB2_190
; %bb.183:                              ;   in Loop: Header=BB2_41 Depth=3
	s_andn2_saveexec_b64 s[10:11], s[10:11]
	s_cbranch_execnz .LBB2_199
.LBB2_184:                              ;   in Loop: Header=BB2_41 Depth=3
	s_or_b64 exec, exec, s[10:11]
	s_and_b64 exec, exec, s[8:9]
	s_cbranch_execz .LBB2_186
.LBB2_185:                              ;   in Loop: Header=BB2_41 Depth=3
	flat_atomic_add v[2:3], v97
.LBB2_186:                              ;   in Loop: Header=BB2_41 Depth=3
	s_or_b64 exec, exec, s[6:7]
	v_cmp_lt_i32_e32 vcc, 19, v6
	s_and_b64 exec, exec, vcc
	s_cbranch_execz .LBB2_40
; %bb.187:                              ;   in Loop: Header=BB2_41 Depth=3
	v_cmp_lt_i16_e32 vcc, s89, v5
	s_mov_b64 s[6:7], 0
                                        ; implicit-def: $vgpr2_vgpr3
	s_and_saveexec_b64 s[8:9], vcc
	s_xor_b64 s[8:9], exec, s[8:9]
	s_cbranch_execnz .LBB2_206
; %bb.188:                              ;   in Loop: Header=BB2_41 Depth=3
	s_andn2_saveexec_b64 s[8:9], s[8:9]
	s_cbranch_execnz .LBB2_215
.LBB2_189:                              ;   in Loop: Header=BB2_41 Depth=3
	s_or_b64 exec, exec, s[8:9]
	s_and_b64 exec, exec, s[6:7]
	s_cbranch_execz .LBB2_40
	s_branch .LBB2_222
.LBB2_190:                              ;   in Loop: Header=BB2_41 Depth=3
	v_cmp_lt_i16_e32 vcc, s90, v5
                                        ; implicit-def: $vgpr2_vgpr3
	s_and_saveexec_b64 s[12:13], vcc
	s_xor_b64 s[12:13], exec, s[12:13]
	s_cbranch_execz .LBB2_194
; %bb.191:                              ;   in Loop: Header=BB2_41 Depth=3
	v_cmp_eq_u16_e32 vcc, s91, v5
                                        ; implicit-def: $vgpr2_vgpr3
	s_and_saveexec_b64 s[14:15], vcc
; %bb.192:                              ;   in Loop: Header=BB2_41 Depth=3
	v_add_co_u32_e32 v2, vcc, 44, v0
	s_mov_b64 s[8:9], exec
	v_addc_co_u32_e32 v3, vcc, 0, v1, vcc
; %bb.193:                              ;   in Loop: Header=BB2_41 Depth=3
	s_or_b64 exec, exec, s[14:15]
	s_and_b64 s[8:9], s[8:9], exec
.LBB2_194:                              ;   in Loop: Header=BB2_41 Depth=3
	s_andn2_saveexec_b64 s[12:13], s[12:13]
	s_cbranch_execz .LBB2_198
; %bb.195:                              ;   in Loop: Header=BB2_41 Depth=3
	v_cmp_eq_u16_e32 vcc, s92, v5
	s_mov_b64 s[14:15], s[8:9]
                                        ; implicit-def: $vgpr2_vgpr3
	s_and_saveexec_b64 s[16:17], vcc
; %bb.196:                              ;   in Loop: Header=BB2_41 Depth=3
	v_add_co_u32_e32 v2, vcc, 40, v0
	v_addc_co_u32_e32 v3, vcc, 0, v1, vcc
	s_or_b64 s[14:15], s[8:9], exec
; %bb.197:                              ;   in Loop: Header=BB2_41 Depth=3
	s_or_b64 exec, exec, s[16:17]
	s_andn2_b64 s[8:9], s[8:9], exec
	s_and_b64 s[14:15], s[14:15], exec
	s_or_b64 s[8:9], s[8:9], s[14:15]
.LBB2_198:                              ;   in Loop: Header=BB2_41 Depth=3
	s_or_b64 exec, exec, s[12:13]
	s_and_b64 s[8:9], s[8:9], exec
	s_andn2_saveexec_b64 s[10:11], s[10:11]
	s_cbranch_execz .LBB2_184
.LBB2_199:                              ;   in Loop: Header=BB2_41 Depth=3
	v_cmp_lt_i16_e32 vcc, s93, v5
	s_mov_b64 s[12:13], s[8:9]
                                        ; implicit-def: $vgpr2_vgpr3
	s_and_saveexec_b64 s[14:15], vcc
	s_xor_b64 s[14:15], exec, s[14:15]
	s_cbranch_execz .LBB2_203
; %bb.200:                              ;   in Loop: Header=BB2_41 Depth=3
	v_cmp_eq_u16_e32 vcc, s94, v5
	s_mov_b64 s[12:13], s[8:9]
                                        ; implicit-def: $vgpr2_vgpr3
	s_and_saveexec_b64 s[16:17], vcc
; %bb.201:                              ;   in Loop: Header=BB2_41 Depth=3
	v_add_co_u32_e32 v2, vcc, 36, v0
	v_addc_co_u32_e32 v3, vcc, 0, v1, vcc
	s_or_b64 s[12:13], s[8:9], exec
; %bb.202:                              ;   in Loop: Header=BB2_41 Depth=3
	s_or_b64 exec, exec, s[16:17]
	s_andn2_b64 s[16:17], s[8:9], exec
	s_and_b64 s[12:13], s[12:13], exec
	s_or_b64 s[12:13], s[16:17], s[12:13]
.LBB2_203:                              ;   in Loop: Header=BB2_41 Depth=3
	s_andn2_saveexec_b64 s[14:15], s[14:15]
; %bb.204:                              ;   in Loop: Header=BB2_41 Depth=3
	v_add_co_u32_e32 v2, vcc, 32, v0
	v_addc_co_u32_e32 v3, vcc, 0, v1, vcc
	v_cmp_eq_u16_e32 vcc, s95, v5
	s_andn2_b64 s[12:13], s[12:13], exec
	s_and_b64 s[16:17], vcc, exec
	s_or_b64 s[12:13], s[12:13], s[16:17]
; %bb.205:                              ;   in Loop: Header=BB2_41 Depth=3
	s_or_b64 exec, exec, s[14:15]
	s_andn2_b64 s[8:9], s[8:9], exec
	s_and_b64 s[12:13], s[12:13], exec
	s_or_b64 s[8:9], s[8:9], s[12:13]
	s_or_b64 exec, exec, s[10:11]
	s_and_b64 exec, exec, s[8:9]
	s_cbranch_execnz .LBB2_185
	s_branch .LBB2_186
.LBB2_206:                              ;   in Loop: Header=BB2_41 Depth=3
	v_cmp_lt_i16_e32 vcc, s90, v5
                                        ; implicit-def: $vgpr2_vgpr3
	s_and_saveexec_b64 s[10:11], vcc
	s_xor_b64 s[10:11], exec, s[10:11]
	s_cbranch_execz .LBB2_210
; %bb.207:                              ;   in Loop: Header=BB2_41 Depth=3
	v_cmp_eq_u16_e32 vcc, s91, v5
                                        ; implicit-def: $vgpr2_vgpr3
	s_and_saveexec_b64 s[12:13], vcc
; %bb.208:                              ;   in Loop: Header=BB2_41 Depth=3
	v_add_co_u32_e32 v2, vcc, 28, v0
	s_mov_b64 s[6:7], exec
	v_addc_co_u32_e32 v3, vcc, 0, v1, vcc
; %bb.209:                              ;   in Loop: Header=BB2_41 Depth=3
	s_or_b64 exec, exec, s[12:13]
	s_and_b64 s[6:7], s[6:7], exec
                                        ; implicit-def: $vgpr5
                                        ; implicit-def: $vgpr0
                                        ; implicit-def: $vgpr1
.LBB2_210:                              ;   in Loop: Header=BB2_41 Depth=3
	s_andn2_saveexec_b64 s[10:11], s[10:11]
	s_cbranch_execz .LBB2_214
; %bb.211:                              ;   in Loop: Header=BB2_41 Depth=3
	v_cmp_eq_u16_e32 vcc, s92, v5
	s_mov_b64 s[12:13], s[6:7]
                                        ; implicit-def: $vgpr2_vgpr3
	s_and_saveexec_b64 s[14:15], vcc
; %bb.212:                              ;   in Loop: Header=BB2_41 Depth=3
	v_add_co_u32_e32 v2, vcc, 24, v0
	v_addc_co_u32_e32 v3, vcc, 0, v1, vcc
	s_or_b64 s[12:13], s[6:7], exec
; %bb.213:                              ;   in Loop: Header=BB2_41 Depth=3
	s_or_b64 exec, exec, s[14:15]
	s_andn2_b64 s[6:7], s[6:7], exec
	s_and_b64 s[12:13], s[12:13], exec
	s_or_b64 s[6:7], s[6:7], s[12:13]
.LBB2_214:                              ;   in Loop: Header=BB2_41 Depth=3
	s_or_b64 exec, exec, s[10:11]
	s_and_b64 s[6:7], s[6:7], exec
                                        ; implicit-def: $vgpr0
                                        ; implicit-def: $vgpr1
                                        ; implicit-def: $vgpr5
	s_andn2_saveexec_b64 s[8:9], s[8:9]
	s_cbranch_execz .LBB2_189
.LBB2_215:                              ;   in Loop: Header=BB2_41 Depth=3
	v_cmp_lt_i16_e32 vcc, s93, v5
	s_mov_b64 s[10:11], s[6:7]
                                        ; implicit-def: $vgpr2_vgpr3
	s_and_saveexec_b64 s[12:13], vcc
	s_xor_b64 s[12:13], exec, s[12:13]
	s_cbranch_execz .LBB2_219
; %bb.216:                              ;   in Loop: Header=BB2_41 Depth=3
	v_cmp_eq_u16_e32 vcc, s94, v5
	s_mov_b64 s[10:11], s[6:7]
                                        ; implicit-def: $vgpr2_vgpr3
	s_and_saveexec_b64 s[14:15], vcc
; %bb.217:                              ;   in Loop: Header=BB2_41 Depth=3
	v_add_co_u32_e32 v2, vcc, 20, v0
	v_addc_co_u32_e32 v3, vcc, 0, v1, vcc
	s_or_b64 s[10:11], s[6:7], exec
; %bb.218:                              ;   in Loop: Header=BB2_41 Depth=3
	s_or_b64 exec, exec, s[14:15]
	s_andn2_b64 s[14:15], s[6:7], exec
	s_and_b64 s[10:11], s[10:11], exec
	s_or_b64 s[10:11], s[14:15], s[10:11]
                                        ; implicit-def: $vgpr0
                                        ; implicit-def: $vgpr1
                                        ; implicit-def: $vgpr5
.LBB2_219:                              ;   in Loop: Header=BB2_41 Depth=3
	s_andn2_saveexec_b64 s[12:13], s[12:13]
; %bb.220:                              ;   in Loop: Header=BB2_41 Depth=3
	v_add_co_u32_e32 v2, vcc, 16, v0
	v_addc_co_u32_e32 v3, vcc, 0, v1, vcc
	v_cmp_eq_u16_e32 vcc, s95, v5
	s_andn2_b64 s[10:11], s[10:11], exec
	s_and_b64 s[14:15], vcc, exec
	s_or_b64 s[10:11], s[10:11], s[14:15]
; %bb.221:                              ;   in Loop: Header=BB2_41 Depth=3
	s_or_b64 exec, exec, s[12:13]
	s_andn2_b64 s[6:7], s[6:7], exec
	s_and_b64 s[10:11], s[10:11], exec
	s_or_b64 s[6:7], s[6:7], s[10:11]
	s_or_b64 exec, exec, s[8:9]
	s_and_b64 exec, exec, s[6:7]
	s_cbranch_execz .LBB2_40
.LBB2_222:                              ;   in Loop: Header=BB2_41 Depth=3
	flat_atomic_add v[2:3], v97
	s_branch .LBB2_40
.LBB2_223:                              ;   in Loop: Header=BB2_13 Depth=1
	s_or_b64 exec, exec, s[78:79]
; %bb.224:                              ;   in Loop: Header=BB2_13 Depth=1
	s_and_saveexec_b64 s[10:11], s[42:43]
	s_cbranch_execz .LBB2_577
; %bb.225:                              ;   in Loop: Header=BB2_13 Depth=1
	s_mov_b64 s[12:13], 0
	v_mov_b32_e32 v28, v72
	s_branch .LBB2_227
.LBB2_226:                              ;   in Loop: Header=BB2_227 Depth=2
	s_or_b64 exec, exec, s[14:15]
	v_add_u32_e32 v28, 64, v28
	v_cmp_ge_u32_e32 vcc, v28, v41
	s_or_b64 s[12:13], vcc, s[12:13]
	s_andn2_b64 exec, exec, s[12:13]
	s_cbranch_execz .LBB2_577
.LBB2_227:                              ;   Parent Loop BB2_13 Depth=1
                                        ; =>  This Loop Header: Depth=2
                                        ;       Child Loop BB2_336 Depth 3
                                        ;       Child Loop BB2_344 Depth 3
	;; [unrolled: 1-line block ×9, first 2 shown]
                                        ;         Child Loop BB2_437 Depth 4
                                        ;         Child Loop BB2_444 Depth 4
	;; [unrolled: 1-line block ×11, first 2 shown]
	v_mad_u64_u32 v[26:27], s[4:5], v28, 56, v[42:43]
	global_load_dword v0, v[26:27], off offset:8
	s_waitcnt vmcnt(0)
	v_cmp_ne_u32_e32 vcc, -1, v0
	s_and_saveexec_b64 s[14:15], vcc
	s_cbranch_execz .LBB2_226
; %bb.228:                              ;   in Loop: Header=BB2_227 Depth=2
	global_load_dwordx4 v[0:3], v[26:27], off offset:32
	global_load_dwordx4 v[6:9], v[26:27], off offset:16
	s_nop 0
	buffer_store_byte v99, off, s[0:3], 0
	buffer_store_byte v100, off, s[0:3], 0 offset:16
	buffer_store_byte v101, off, s[0:3], 0 offset:32
	;; [unrolled: 1-line block ×3, first 2 shown]
	s_waitcnt vmcnt(0)
	buffer_store_dword v0, off, s[0:3], 0 offset:8
	buffer_store_dword v6, off, s[0:3], 0 offset:4
	;; [unrolled: 1-line block ×8, first 2 shown]
	v_mov_b32_e32 v14, v3
	v_mov_b32_e32 v15, v2
	v_mov_b32_e32 v16, v1
	v_cmp_lt_u32_e32 vcc, 1, v0
	v_mov_b32_e32 v5, v0
	s_and_saveexec_b64 s[6:7], vcc
	s_cbranch_execz .LBB2_242
; %bb.229:                              ;   in Loop: Header=BB2_227 Depth=2
	v_cvt_f64_u32_e32 v[12:13], v0
	v_cmp_ngt_f64_e32 vcc, v[76:77], v[12:13]
	v_mov_b32_e32 v5, 2
	s_and_saveexec_b64 s[8:9], vcc
	s_cbranch_execz .LBB2_241
; %bb.230:                              ;   in Loop: Header=BB2_227 Depth=2
	v_cmp_ngt_f64_e32 vcc, v[78:79], v[12:13]
	v_cmp_nle_f64_e64 s[4:5], v[76:77], v[12:13]
	v_cvt_f64_u32_e32 v[10:11], v6
	s_or_b64 s[4:5], vcc, s[4:5]
	v_cmp_ngt_f64_e32 vcc, v[76:77], v[10:11]
	s_or_b64 s[18:19], s[4:5], vcc
	v_mov_b32_e32 v5, 3
	s_and_saveexec_b64 s[16:17], s[18:19]
	s_cbranch_execz .LBB2_240
; %bb.231:                              ;   in Loop: Header=BB2_227 Depth=2
	v_cmp_nle_f64_e32 vcc, v[76:77], v[10:11]
	s_or_b64 s[4:5], s[4:5], vcc
	v_mov_b32_e32 v5, 4
	s_and_saveexec_b64 s[18:19], s[4:5]
	s_cbranch_execz .LBB2_239
; %bb.232:                              ;   in Loop: Header=BB2_227 Depth=2
	v_cmp_nle_f64_e64 s[22:23], v[78:79], v[12:13]
	v_cmp_ngt_f64_e64 s[4:5], v[76:77], v[10:11]
	v_cmp_le_f64_e32 vcc, v[78:79], v[12:13]
	s_or_b64 s[4:5], s[22:23], s[4:5]
	v_mov_b32_e32 v5, 5
	s_and_saveexec_b64 s[20:21], s[4:5]
	s_cbranch_execz .LBB2_238
; %bb.233:                              ;   in Loop: Header=BB2_227 Depth=2
                                        ; implicit-def: $sgpr4
	s_and_saveexec_b64 s[24:25], vcc
; %bb.234:                              ;   in Loop: Header=BB2_227 Depth=2
	v_cmp_nlt_f64_e32 vcc, v[76:77], v[10:11]
	v_cmp_ngt_f64_e64 s[4:5], v[78:79], v[10:11]
	s_or_b64 s[26:27], vcc, s[4:5]
	s_andn2_b64 s[22:23], s[22:23], exec
	s_and_b64 s[26:27], s[26:27], exec
	s_mov_b32 s4, 6
	s_or_b64 s[22:23], s[22:23], s[26:27]
; %bb.235:                              ;   in Loop: Header=BB2_227 Depth=2
	s_or_b64 exec, exec, s[24:25]
	v_mov_b32_e32 v5, s4
	s_and_saveexec_b64 s[4:5], s[22:23]
; %bb.236:                              ;   in Loop: Header=BB2_227 Depth=2
	v_mov_b32_e32 v5, 7
; %bb.237:                              ;   in Loop: Header=BB2_227 Depth=2
	s_or_b64 exec, exec, s[4:5]
.LBB2_238:                              ;   in Loop: Header=BB2_227 Depth=2
	s_or_b64 exec, exec, s[20:21]
.LBB2_239:                              ;   in Loop: Header=BB2_227 Depth=2
	s_or_b64 exec, exec, s[18:19]
.LBB2_240:                              ;   in Loop: Header=BB2_227 Depth=2
	s_or_b64 exec, exec, s[16:17]
.LBB2_241:                              ;   in Loop: Header=BB2_227 Depth=2
	s_or_b64 exec, exec, s[8:9]
.LBB2_242:                              ;   in Loop: Header=BB2_227 Depth=2
	s_or_b64 exec, exec, s[6:7]
	v_cmp_lt_u32_e32 vcc, 1, v1
	buffer_store_dword v5, off, s[0:3], 0 offset:12
	s_and_saveexec_b64 s[6:7], vcc
	s_cbranch_execz .LBB2_256
; %bb.243:                              ;   in Loop: Header=BB2_227 Depth=2
	v_cvt_f64_u32_e32 v[12:13], v1
	v_cmp_ngt_f64_e32 vcc, v[76:77], v[12:13]
	v_mov_b32_e32 v16, 2
	s_and_saveexec_b64 s[8:9], vcc
	s_cbranch_execz .LBB2_255
; %bb.244:                              ;   in Loop: Header=BB2_227 Depth=2
	v_cmp_ngt_f64_e32 vcc, v[78:79], v[12:13]
	v_cmp_nle_f64_e64 s[4:5], v[76:77], v[12:13]
	v_cvt_f64_u32_e32 v[10:11], v7
	s_or_b64 s[4:5], vcc, s[4:5]
	v_cmp_ngt_f64_e32 vcc, v[76:77], v[10:11]
	s_or_b64 s[18:19], s[4:5], vcc
	v_mov_b32_e32 v16, 3
	s_and_saveexec_b64 s[16:17], s[18:19]
	s_cbranch_execz .LBB2_254
; %bb.245:                              ;   in Loop: Header=BB2_227 Depth=2
	v_cmp_nle_f64_e32 vcc, v[76:77], v[10:11]
	s_or_b64 s[4:5], s[4:5], vcc
	v_mov_b32_e32 v16, 4
	s_and_saveexec_b64 s[18:19], s[4:5]
	s_cbranch_execz .LBB2_253
; %bb.246:                              ;   in Loop: Header=BB2_227 Depth=2
	v_cmp_nle_f64_e64 s[22:23], v[78:79], v[12:13]
	v_cmp_ngt_f64_e64 s[4:5], v[76:77], v[10:11]
	v_cmp_le_f64_e32 vcc, v[78:79], v[12:13]
	s_or_b64 s[4:5], s[22:23], s[4:5]
	v_mov_b32_e32 v16, 5
	s_and_saveexec_b64 s[20:21], s[4:5]
	s_cbranch_execz .LBB2_252
; %bb.247:                              ;   in Loop: Header=BB2_227 Depth=2
                                        ; implicit-def: $sgpr4
	s_and_saveexec_b64 s[24:25], vcc
; %bb.248:                              ;   in Loop: Header=BB2_227 Depth=2
	v_cmp_nlt_f64_e32 vcc, v[76:77], v[10:11]
	v_cmp_ngt_f64_e64 s[4:5], v[78:79], v[10:11]
	s_or_b64 s[26:27], vcc, s[4:5]
	s_andn2_b64 s[22:23], s[22:23], exec
	s_and_b64 s[26:27], s[26:27], exec
	s_mov_b32 s4, 6
	s_or_b64 s[22:23], s[22:23], s[26:27]
; %bb.249:                              ;   in Loop: Header=BB2_227 Depth=2
	s_or_b64 exec, exec, s[24:25]
	v_mov_b32_e32 v16, s4
	s_and_saveexec_b64 s[4:5], s[22:23]
; %bb.250:                              ;   in Loop: Header=BB2_227 Depth=2
	v_mov_b32_e32 v16, 7
; %bb.251:                              ;   in Loop: Header=BB2_227 Depth=2
	s_or_b64 exec, exec, s[4:5]
.LBB2_252:                              ;   in Loop: Header=BB2_227 Depth=2
	s_or_b64 exec, exec, s[20:21]
.LBB2_253:                              ;   in Loop: Header=BB2_227 Depth=2
	s_or_b64 exec, exec, s[18:19]
.LBB2_254:                              ;   in Loop: Header=BB2_227 Depth=2
	s_or_b64 exec, exec, s[16:17]
.LBB2_255:                              ;   in Loop: Header=BB2_227 Depth=2
	s_or_b64 exec, exec, s[8:9]
.LBB2_256:                              ;   in Loop: Header=BB2_227 Depth=2
	s_or_b64 exec, exec, s[6:7]
	v_cmp_lt_u32_e32 vcc, 1, v2
	buffer_store_dword v16, off, s[0:3], 0 offset:28
	;; [unrolled: 63-line block ×3, first 2 shown]
	s_and_saveexec_b64 s[6:7], vcc
	s_cbranch_execz .LBB2_284
; %bb.271:                              ;   in Loop: Header=BB2_227 Depth=2
	v_cvt_f64_u32_e32 v[12:13], v3
	v_cmp_ngt_f64_e32 vcc, v[76:77], v[12:13]
	v_mov_b32_e32 v14, 2
	s_and_saveexec_b64 s[8:9], vcc
	s_cbranch_execz .LBB2_283
; %bb.272:                              ;   in Loop: Header=BB2_227 Depth=2
	v_cmp_ngt_f64_e32 vcc, v[78:79], v[12:13]
	v_cmp_nle_f64_e64 s[4:5], v[76:77], v[12:13]
	v_cvt_f64_u32_e32 v[10:11], v9
	s_or_b64 s[4:5], vcc, s[4:5]
	v_cmp_ngt_f64_e32 vcc, v[76:77], v[10:11]
	s_or_b64 s[18:19], s[4:5], vcc
	v_mov_b32_e32 v14, 3
	s_and_saveexec_b64 s[16:17], s[18:19]
	s_cbranch_execz .LBB2_282
; %bb.273:                              ;   in Loop: Header=BB2_227 Depth=2
	v_cmp_nle_f64_e32 vcc, v[76:77], v[10:11]
	s_or_b64 s[4:5], s[4:5], vcc
	v_mov_b32_e32 v14, 4
	s_and_saveexec_b64 s[18:19], s[4:5]
	s_cbranch_execz .LBB2_281
; %bb.274:                              ;   in Loop: Header=BB2_227 Depth=2
	v_cmp_nle_f64_e64 s[22:23], v[78:79], v[12:13]
	v_cmp_ngt_f64_e64 s[4:5], v[76:77], v[10:11]
	v_cmp_le_f64_e32 vcc, v[78:79], v[12:13]
	s_or_b64 s[4:5], s[22:23], s[4:5]
	v_mov_b32_e32 v14, 5
	s_and_saveexec_b64 s[20:21], s[4:5]
	s_cbranch_execz .LBB2_280
; %bb.275:                              ;   in Loop: Header=BB2_227 Depth=2
                                        ; implicit-def: $sgpr4
	s_and_saveexec_b64 s[24:25], vcc
; %bb.276:                              ;   in Loop: Header=BB2_227 Depth=2
	v_cmp_nlt_f64_e32 vcc, v[76:77], v[10:11]
	v_cmp_ngt_f64_e64 s[4:5], v[78:79], v[10:11]
	s_or_b64 s[26:27], vcc, s[4:5]
	s_andn2_b64 s[22:23], s[22:23], exec
	s_and_b64 s[26:27], s[26:27], exec
	s_mov_b32 s4, 6
	s_or_b64 s[22:23], s[22:23], s[26:27]
; %bb.277:                              ;   in Loop: Header=BB2_227 Depth=2
	s_or_b64 exec, exec, s[24:25]
	v_mov_b32_e32 v14, s4
	s_and_saveexec_b64 s[4:5], s[22:23]
; %bb.278:                              ;   in Loop: Header=BB2_227 Depth=2
	v_mov_b32_e32 v14, 7
; %bb.279:                              ;   in Loop: Header=BB2_227 Depth=2
	s_or_b64 exec, exec, s[4:5]
.LBB2_280:                              ;   in Loop: Header=BB2_227 Depth=2
	s_or_b64 exec, exec, s[20:21]
.LBB2_281:                              ;   in Loop: Header=BB2_227 Depth=2
	s_or_b64 exec, exec, s[18:19]
.LBB2_282:                              ;   in Loop: Header=BB2_227 Depth=2
	s_or_b64 exec, exec, s[16:17]
.LBB2_283:                              ;   in Loop: Header=BB2_227 Depth=2
	s_or_b64 exec, exec, s[8:9]
.LBB2_284:                              ;   in Loop: Header=BB2_227 Depth=2
	s_or_b64 exec, exec, s[6:7]
	v_cmp_ne_u32_e32 vcc, v5, v16
	buffer_store_dword v14, off, s[0:3], 0 offset:60
                                        ; implicit-def: $sgpr4_sgpr5
	s_and_saveexec_b64 s[6:7], vcc
	s_xor_b64 s[6:7], exec, s[6:7]
	s_cbranch_execnz .LBB2_355
; %bb.285:                              ;   in Loop: Header=BB2_227 Depth=2
	s_andn2_saveexec_b64 s[6:7], s[6:7]
	s_cbranch_execnz .LBB2_356
.LBB2_286:                              ;   in Loop: Header=BB2_227 Depth=2
	s_or_b64 exec, exec, s[6:7]
	s_and_saveexec_b64 s[6:7], s[4:5]
	s_cbranch_execz .LBB2_288
.LBB2_287:                              ;   in Loop: Header=BB2_227 Depth=2
	buffer_load_dword v0, off, s[0:3], 0 offset:8
	buffer_load_dword v1, off, s[0:3], 0 offset:12
	buffer_load_dword v6, off, s[0:3], 0
	buffer_load_dword v7, off, s[0:3], 0 offset:4
	buffer_load_dword v10, v91, s[0:3], 0 offen
	buffer_load_dword v11, v91, s[0:3], 0 offen offset:4
	buffer_load_dword v12, v91, s[0:3], 0 offen offset:8
	;; [unrolled: 1-line block ×3, first 2 shown]
	s_waitcnt vmcnt(0)
	ds_write2_b32 v90, v0, v1 offset0:2 offset1:3
	ds_write2_b32 v90, v6, v7 offset1:1
	buffer_store_dword v10, off, s[0:3], 0
	buffer_store_dword v11, off, s[0:3], 0 offset:4
	buffer_store_dword v12, off, s[0:3], 0 offset:8
	;; [unrolled: 1-line block ×3, first 2 shown]
	buffer_store_dword v6, v91, s[0:3], 0 offen
	buffer_store_dword v7, v91, s[0:3], 0 offen offset:4
	buffer_store_dword v0, v91, s[0:3], 0 offen offset:8
	;; [unrolled: 1-line block ×3, first 2 shown]
.LBB2_288:                              ;   in Loop: Header=BB2_227 Depth=2
	s_or_b64 exec, exec, s[6:7]
	v_cmp_ne_u32_e32 vcc, v5, v15
                                        ; implicit-def: $sgpr4_sgpr5
	s_and_saveexec_b64 s[6:7], vcc
	s_xor_b64 s[6:7], exec, s[6:7]
	s_cbranch_execnz .LBB2_361
; %bb.289:                              ;   in Loop: Header=BB2_227 Depth=2
	s_andn2_saveexec_b64 s[6:7], s[6:7]
	s_cbranch_execnz .LBB2_362
.LBB2_290:                              ;   in Loop: Header=BB2_227 Depth=2
	s_or_b64 exec, exec, s[6:7]
	s_and_saveexec_b64 s[6:7], s[4:5]
	s_cbranch_execz .LBB2_292
.LBB2_291:                              ;   in Loop: Header=BB2_227 Depth=2
	buffer_load_dword v0, off, s[0:3], 0 offset:8
	buffer_load_dword v1, off, s[0:3], 0 offset:12
	buffer_load_dword v2, off, s[0:3], 0
	buffer_load_dword v6, off, s[0:3], 0 offset:4
	buffer_load_dword v7, v92, s[0:3], 0 offen
	buffer_load_dword v8, v92, s[0:3], 0 offen offset:4
	buffer_load_dword v10, v92, s[0:3], 0 offen offset:8
	;; [unrolled: 1-line block ×3, first 2 shown]
	s_waitcnt vmcnt(0)
	ds_write2_b32 v90, v0, v1 offset0:2 offset1:3
	ds_write2_b32 v90, v2, v6 offset1:1
	buffer_store_dword v7, off, s[0:3], 0
	buffer_store_dword v8, off, s[0:3], 0 offset:4
	buffer_store_dword v10, off, s[0:3], 0 offset:8
	;; [unrolled: 1-line block ×3, first 2 shown]
	buffer_store_dword v2, v92, s[0:3], 0 offen
	buffer_store_dword v6, v92, s[0:3], 0 offen offset:4
	buffer_store_dword v0, v92, s[0:3], 0 offen offset:8
	;; [unrolled: 1-line block ×3, first 2 shown]
.LBB2_292:                              ;   in Loop: Header=BB2_227 Depth=2
	s_or_b64 exec, exec, s[6:7]
	v_cmp_ne_u32_e32 vcc, v5, v14
                                        ; implicit-def: $sgpr4_sgpr5
	s_and_saveexec_b64 s[6:7], vcc
	s_xor_b64 s[6:7], exec, s[6:7]
	s_cbranch_execnz .LBB2_367
; %bb.293:                              ;   in Loop: Header=BB2_227 Depth=2
	s_andn2_saveexec_b64 s[6:7], s[6:7]
	s_cbranch_execnz .LBB2_368
.LBB2_294:                              ;   in Loop: Header=BB2_227 Depth=2
	s_or_b64 exec, exec, s[6:7]
	s_and_saveexec_b64 s[6:7], s[4:5]
	s_cbranch_execz .LBB2_296
.LBB2_295:                              ;   in Loop: Header=BB2_227 Depth=2
	buffer_load_dword v0, off, s[0:3], 0 offset:8
	buffer_load_dword v1, off, s[0:3], 0 offset:12
	buffer_load_dword v2, off, s[0:3], 0
	buffer_load_dword v3, off, s[0:3], 0 offset:4
	buffer_load_dword v6, v93, s[0:3], 0 offen
	buffer_load_dword v7, v93, s[0:3], 0 offen offset:4
	buffer_load_dword v8, v93, s[0:3], 0 offen offset:8
	;; [unrolled: 1-line block ×3, first 2 shown]
	s_waitcnt vmcnt(0)
	ds_write2_b32 v90, v0, v1 offset0:2 offset1:3
	ds_write2_b32 v90, v2, v3 offset1:1
	buffer_store_dword v6, off, s[0:3], 0
	buffer_store_dword v7, off, s[0:3], 0 offset:4
	buffer_store_dword v8, off, s[0:3], 0 offset:8
	;; [unrolled: 1-line block ×3, first 2 shown]
	buffer_store_dword v2, v93, s[0:3], 0 offen
	buffer_store_dword v3, v93, s[0:3], 0 offen offset:4
	buffer_store_dword v0, v93, s[0:3], 0 offen offset:8
	;; [unrolled: 1-line block ×3, first 2 shown]
.LBB2_296:                              ;   in Loop: Header=BB2_227 Depth=2
	s_or_b64 exec, exec, s[6:7]
	buffer_load_dword v0, off, s[0:3], 0 offset:28
                                        ; implicit-def: $sgpr4_sgpr5
	s_waitcnt vmcnt(0)
	v_cmp_ne_u32_e32 vcc, v0, v5
	s_and_saveexec_b64 s[6:7], vcc
	s_xor_b64 s[6:7], exec, s[6:7]
	s_cbranch_execnz .LBB2_373
; %bb.297:                              ;   in Loop: Header=BB2_227 Depth=2
	s_andn2_saveexec_b64 s[6:7], s[6:7]
	s_cbranch_execnz .LBB2_374
.LBB2_298:                              ;   in Loop: Header=BB2_227 Depth=2
	s_or_b64 exec, exec, s[6:7]
	s_and_saveexec_b64 s[6:7], s[4:5]
	s_cbranch_execz .LBB2_300
.LBB2_299:                              ;   in Loop: Header=BB2_227 Depth=2
	buffer_load_dword v1, v91, s[0:3], 0 offen offset:8
	buffer_load_dword v0, off, s[0:3], 0 offset:12
	buffer_load_dword v2, v91, s[0:3], 0 offen
	buffer_load_dword v3, v91, s[0:3], 0 offen offset:12
	buffer_load_dword v5, v91, s[0:3], 0 offen offset:4
	buffer_load_dword v6, off, s[0:3], 0
	buffer_load_dword v7, off, s[0:3], 0 offset:4
	buffer_load_dword v8, off, s[0:3], 0 offset:8
	s_waitcnt vmcnt(0)
	buffer_store_dword v0, v91, s[0:3], 0 offen offset:12
	buffer_load_dword v0, off, s[0:3], 0 offset:28
	ds_write2_b32 v90, v1, v3 offset0:2 offset1:3
	ds_write2_b32 v90, v2, v5 offset1:1
	buffer_store_dword v6, v91, s[0:3], 0 offen
	buffer_store_dword v7, v91, s[0:3], 0 offen offset:4
	buffer_store_dword v8, v91, s[0:3], 0 offen offset:8
	buffer_store_dword v2, off, s[0:3], 0
	buffer_store_dword v5, off, s[0:3], 0 offset:4
	buffer_store_dword v1, off, s[0:3], 0 offset:8
	;; [unrolled: 1-line block ×3, first 2 shown]
.LBB2_300:                              ;   in Loop: Header=BB2_227 Depth=2
	s_or_b64 exec, exec, s[6:7]
	buffer_load_dword v1, off, s[0:3], 0 offset:44
                                        ; implicit-def: $sgpr4_sgpr5
	s_waitcnt vmcnt(0)
	v_cmp_ne_u32_e32 vcc, v0, v1
	s_and_saveexec_b64 s[6:7], vcc
	s_xor_b64 s[6:7], exec, s[6:7]
	s_cbranch_execnz .LBB2_379
; %bb.301:                              ;   in Loop: Header=BB2_227 Depth=2
	s_andn2_saveexec_b64 s[6:7], s[6:7]
	s_cbranch_execnz .LBB2_380
.LBB2_302:                              ;   in Loop: Header=BB2_227 Depth=2
	s_or_b64 exec, exec, s[6:7]
	s_and_saveexec_b64 s[6:7], s[4:5]
	s_cbranch_execz .LBB2_304
.LBB2_303:                              ;   in Loop: Header=BB2_227 Depth=2
	buffer_load_dword v1, v91, s[0:3], 0 offen offset:4
	buffer_load_dword v2, v91, s[0:3], 0 offen offset:8
	;; [unrolled: 1-line block ×4, first 2 shown]
	buffer_load_dword v5, v91, s[0:3], 0 offen
	buffer_load_dword v6, v92, s[0:3], 0 offen
	buffer_load_dword v7, v92, s[0:3], 0 offen offset:4
	buffer_load_dword v8, v92, s[0:3], 0 offen offset:8
	s_waitcnt vmcnt(0)
	buffer_store_dword v0, v91, s[0:3], 0 offen offset:12
	buffer_load_dword v0, off, s[0:3], 0 offset:28
	ds_write2_b32 v90, v2, v3 offset0:2 offset1:3
	ds_write2_b32 v90, v5, v1 offset1:1
	buffer_store_dword v6, v91, s[0:3], 0 offen
	buffer_store_dword v7, v91, s[0:3], 0 offen offset:4
	buffer_store_dword v8, v91, s[0:3], 0 offen offset:8
	buffer_store_dword v5, v92, s[0:3], 0 offen
	buffer_store_dword v1, v92, s[0:3], 0 offen offset:4
	buffer_store_dword v2, v92, s[0:3], 0 offen offset:8
	;; [unrolled: 1-line block ×3, first 2 shown]
.LBB2_304:                              ;   in Loop: Header=BB2_227 Depth=2
	s_or_b64 exec, exec, s[6:7]
	buffer_load_dword v1, off, s[0:3], 0 offset:60
                                        ; implicit-def: $sgpr4_sgpr5
	s_waitcnt vmcnt(0)
	v_cmp_ne_u32_e32 vcc, v0, v1
	s_and_saveexec_b64 s[6:7], vcc
	s_xor_b64 s[6:7], exec, s[6:7]
	s_cbranch_execnz .LBB2_385
; %bb.305:                              ;   in Loop: Header=BB2_227 Depth=2
	s_andn2_saveexec_b64 s[6:7], s[6:7]
	s_cbranch_execnz .LBB2_386
.LBB2_306:                              ;   in Loop: Header=BB2_227 Depth=2
	s_or_b64 exec, exec, s[6:7]
	s_and_saveexec_b64 s[6:7], s[4:5]
	s_cbranch_execz .LBB2_308
.LBB2_307:                              ;   in Loop: Header=BB2_227 Depth=2
	buffer_load_dword v0, v91, s[0:3], 0 offen offset:8
	buffer_load_dword v1, v91, s[0:3], 0 offen offset:12
	buffer_load_dword v2, v91, s[0:3], 0 offen
	buffer_load_dword v3, v91, s[0:3], 0 offen offset:4
	buffer_load_dword v5, v93, s[0:3], 0 offen
	buffer_load_dword v6, v93, s[0:3], 0 offen offset:4
	buffer_load_dword v7, v93, s[0:3], 0 offen offset:8
	;; [unrolled: 1-line block ×3, first 2 shown]
	s_waitcnt vmcnt(0)
	ds_write2_b32 v90, v0, v1 offset0:2 offset1:3
	ds_write2_b32 v90, v2, v3 offset1:1
	buffer_store_dword v5, v91, s[0:3], 0 offen
	buffer_store_dword v6, v91, s[0:3], 0 offen offset:4
	buffer_store_dword v7, v91, s[0:3], 0 offen offset:8
	;; [unrolled: 1-line block ×3, first 2 shown]
	buffer_store_dword v2, v93, s[0:3], 0 offen
	buffer_store_dword v3, v93, s[0:3], 0 offen offset:4
	buffer_store_dword v0, v93, s[0:3], 0 offen offset:8
	;; [unrolled: 1-line block ×3, first 2 shown]
.LBB2_308:                              ;   in Loop: Header=BB2_227 Depth=2
	s_or_b64 exec, exec, s[6:7]
	buffer_load_dword v0, off, s[0:3], 0 offset:12
	buffer_load_dword v1, off, s[0:3], 0 offset:44
                                        ; implicit-def: $sgpr4_sgpr5
	s_waitcnt vmcnt(0)
	v_cmp_ne_u32_e32 vcc, v1, v0
	s_and_saveexec_b64 s[6:7], vcc
	s_xor_b64 s[6:7], exec, s[6:7]
	s_cbranch_execnz .LBB2_391
; %bb.309:                              ;   in Loop: Header=BB2_227 Depth=2
	s_andn2_saveexec_b64 s[6:7], s[6:7]
	s_cbranch_execnz .LBB2_392
.LBB2_310:                              ;   in Loop: Header=BB2_227 Depth=2
	s_or_b64 exec, exec, s[6:7]
	s_and_saveexec_b64 s[6:7], s[4:5]
	s_cbranch_execz .LBB2_312
.LBB2_311:                              ;   in Loop: Header=BB2_227 Depth=2
	buffer_load_dword v0, v92, s[0:3], 0 offen offset:8
	buffer_load_dword v1, off, s[0:3], 0 offset:12
	buffer_load_dword v2, v92, s[0:3], 0 offen
	buffer_load_dword v3, v92, s[0:3], 0 offen offset:12
	buffer_load_dword v5, v92, s[0:3], 0 offen offset:4
	buffer_load_dword v6, off, s[0:3], 0
	buffer_load_dword v7, off, s[0:3], 0 offset:4
	buffer_load_dword v8, off, s[0:3], 0 offset:8
	s_waitcnt vmcnt(0)
	buffer_store_dword v1, v92, s[0:3], 0 offen offset:12
	buffer_load_dword v1, off, s[0:3], 0 offset:44
	ds_write2_b32 v90, v0, v3 offset0:2 offset1:3
	ds_write2_b32 v90, v2, v5 offset1:1
	buffer_store_dword v6, v92, s[0:3], 0 offen
	buffer_store_dword v7, v92, s[0:3], 0 offen offset:4
	buffer_store_dword v8, v92, s[0:3], 0 offen offset:8
	buffer_store_dword v2, off, s[0:3], 0
	buffer_store_dword v5, off, s[0:3], 0 offset:4
	buffer_store_dword v0, off, s[0:3], 0 offset:8
	;; [unrolled: 1-line block ×3, first 2 shown]
.LBB2_312:                              ;   in Loop: Header=BB2_227 Depth=2
	s_or_b64 exec, exec, s[6:7]
	buffer_load_dword v0, off, s[0:3], 0 offset:28
                                        ; implicit-def: $sgpr4_sgpr5
	s_waitcnt vmcnt(0)
	v_cmp_ne_u32_e32 vcc, v1, v0
	s_and_saveexec_b64 s[6:7], vcc
	s_xor_b64 s[6:7], exec, s[6:7]
	s_cbranch_execnz .LBB2_397
; %bb.313:                              ;   in Loop: Header=BB2_227 Depth=2
	s_andn2_saveexec_b64 s[6:7], s[6:7]
	s_cbranch_execnz .LBB2_398
.LBB2_314:                              ;   in Loop: Header=BB2_227 Depth=2
	s_or_b64 exec, exec, s[6:7]
	s_and_saveexec_b64 s[6:7], s[4:5]
	s_cbranch_execz .LBB2_316
.LBB2_315:                              ;   in Loop: Header=BB2_227 Depth=2
	buffer_load_dword v0, v91, s[0:3], 0 offen offset:12
	buffer_load_dword v2, v92, s[0:3], 0 offen offset:8
	buffer_load_dword v3, v92, s[0:3], 0 offen offset:12
	buffer_load_dword v5, v92, s[0:3], 0 offen
	buffer_load_dword v6, v92, s[0:3], 0 offen offset:4
	buffer_load_dword v7, v91, s[0:3], 0 offen
	buffer_load_dword v8, v91, s[0:3], 0 offen offset:4
	buffer_load_dword v9, v91, s[0:3], 0 offen offset:8
	s_waitcnt vmcnt(0)
	buffer_store_dword v0, v92, s[0:3], 0 offen offset:12
	buffer_load_dword v1, off, s[0:3], 0 offset:44
	ds_write2_b32 v90, v2, v3 offset0:2 offset1:3
	ds_write2_b32 v90, v5, v6 offset1:1
	buffer_store_dword v7, v92, s[0:3], 0 offen
	buffer_store_dword v8, v92, s[0:3], 0 offen offset:4
	buffer_store_dword v9, v92, s[0:3], 0 offen offset:8
	buffer_store_dword v5, v91, s[0:3], 0 offen
	buffer_store_dword v6, v91, s[0:3], 0 offen offset:4
	buffer_store_dword v2, v91, s[0:3], 0 offen offset:8
	;; [unrolled: 1-line block ×3, first 2 shown]
.LBB2_316:                              ;   in Loop: Header=BB2_227 Depth=2
	s_or_b64 exec, exec, s[6:7]
	buffer_load_dword v0, off, s[0:3], 0 offset:60
                                        ; implicit-def: $sgpr4_sgpr5
	s_waitcnt vmcnt(0)
	v_cmp_ne_u32_e32 vcc, v1, v0
	s_and_saveexec_b64 s[6:7], vcc
	s_xor_b64 s[6:7], exec, s[6:7]
	s_cbranch_execnz .LBB2_403
; %bb.317:                              ;   in Loop: Header=BB2_227 Depth=2
	s_andn2_saveexec_b64 s[6:7], s[6:7]
	s_cbranch_execnz .LBB2_404
.LBB2_318:                              ;   in Loop: Header=BB2_227 Depth=2
	s_or_b64 exec, exec, s[6:7]
	s_and_saveexec_b64 s[6:7], s[4:5]
	s_cbranch_execz .LBB2_320
.LBB2_319:                              ;   in Loop: Header=BB2_227 Depth=2
	buffer_load_dword v1, v92, s[0:3], 0 offen offset:12
	buffer_load_dword v2, v92, s[0:3], 0 offen offset:8
	buffer_load_dword v3, v92, s[0:3], 0 offen
	buffer_load_dword v5, v92, s[0:3], 0 offen offset:4
	buffer_load_dword v6, v93, s[0:3], 0 offen
	buffer_load_dword v7, v93, s[0:3], 0 offen offset:4
	buffer_load_dword v8, v93, s[0:3], 0 offen offset:8
	;; [unrolled: 1-line block ×3, first 2 shown]
	s_waitcnt vmcnt(0)
	buffer_store_dword v1, v93, s[0:3], 0 offen offset:12
	buffer_load_dword v0, off, s[0:3], 0 offset:60
	ds_write2_b32 v90, v2, v1 offset0:2 offset1:3
	ds_write2_b32 v90, v3, v5 offset1:1
	buffer_store_dword v6, v92, s[0:3], 0 offen
	buffer_store_dword v7, v92, s[0:3], 0 offen offset:4
	buffer_store_dword v8, v92, s[0:3], 0 offen offset:8
	;; [unrolled: 1-line block ×3, first 2 shown]
	buffer_store_dword v3, v93, s[0:3], 0 offen
	buffer_store_dword v5, v93, s[0:3], 0 offen offset:4
	buffer_store_dword v2, v93, s[0:3], 0 offen offset:8
.LBB2_320:                              ;   in Loop: Header=BB2_227 Depth=2
	s_or_b64 exec, exec, s[6:7]
	buffer_load_dword v1, off, s[0:3], 0 offset:12
                                        ; implicit-def: $sgpr4_sgpr5
	s_waitcnt vmcnt(0)
	v_cmp_ne_u32_e32 vcc, v0, v1
	s_and_saveexec_b64 s[6:7], vcc
	s_xor_b64 s[6:7], exec, s[6:7]
	s_cbranch_execnz .LBB2_409
; %bb.321:                              ;   in Loop: Header=BB2_227 Depth=2
	s_andn2_saveexec_b64 s[6:7], s[6:7]
	s_cbranch_execnz .LBB2_410
.LBB2_322:                              ;   in Loop: Header=BB2_227 Depth=2
	s_or_b64 exec, exec, s[6:7]
	s_and_saveexec_b64 s[6:7], s[4:5]
	s_cbranch_execz .LBB2_324
.LBB2_323:                              ;   in Loop: Header=BB2_227 Depth=2
	buffer_load_dword v1, v93, s[0:3], 0 offen offset:8
	buffer_load_dword v0, off, s[0:3], 0 offset:12
	buffer_load_dword v2, v93, s[0:3], 0 offen
	buffer_load_dword v3, v93, s[0:3], 0 offen offset:12
	buffer_load_dword v5, v93, s[0:3], 0 offen offset:4
	buffer_load_dword v6, off, s[0:3], 0
	buffer_load_dword v7, off, s[0:3], 0 offset:4
	buffer_load_dword v8, off, s[0:3], 0 offset:8
	s_waitcnt vmcnt(0)
	buffer_store_dword v0, v93, s[0:3], 0 offen offset:12
	buffer_load_dword v0, off, s[0:3], 0 offset:60
	ds_write2_b32 v90, v1, v3 offset0:2 offset1:3
	ds_write2_b32 v90, v2, v5 offset1:1
	buffer_store_dword v6, v93, s[0:3], 0 offen
	buffer_store_dword v7, v93, s[0:3], 0 offen offset:4
	buffer_store_dword v8, v93, s[0:3], 0 offen offset:8
	buffer_store_dword v2, off, s[0:3], 0
	buffer_store_dword v5, off, s[0:3], 0 offset:4
	buffer_store_dword v1, off, s[0:3], 0 offset:8
	;; [unrolled: 1-line block ×3, first 2 shown]
.LBB2_324:                              ;   in Loop: Header=BB2_227 Depth=2
	s_or_b64 exec, exec, s[6:7]
	buffer_load_dword v1, off, s[0:3], 0 offset:28
                                        ; implicit-def: $sgpr4_sgpr5
	s_waitcnt vmcnt(0)
	v_cmp_ne_u32_e32 vcc, v0, v1
	s_and_saveexec_b64 s[6:7], vcc
	s_xor_b64 s[6:7], exec, s[6:7]
	s_cbranch_execnz .LBB2_415
; %bb.325:                              ;   in Loop: Header=BB2_227 Depth=2
	s_andn2_saveexec_b64 s[6:7], s[6:7]
	s_cbranch_execnz .LBB2_416
.LBB2_326:                              ;   in Loop: Header=BB2_227 Depth=2
	s_or_b64 exec, exec, s[6:7]
	s_and_saveexec_b64 s[6:7], s[4:5]
	s_cbranch_execz .LBB2_328
.LBB2_327:                              ;   in Loop: Header=BB2_227 Depth=2
	buffer_load_dword v0, v91, s[0:3], 0 offen offset:12
	buffer_load_dword v1, v93, s[0:3], 0 offen offset:8
	;; [unrolled: 1-line block ×3, first 2 shown]
	buffer_load_dword v3, v93, s[0:3], 0 offen
	buffer_load_dword v5, v93, s[0:3], 0 offen offset:4
	buffer_load_dword v6, v91, s[0:3], 0 offen
	buffer_load_dword v7, v91, s[0:3], 0 offen offset:4
	buffer_load_dword v8, v91, s[0:3], 0 offen offset:8
	s_waitcnt vmcnt(0)
	buffer_store_dword v0, v93, s[0:3], 0 offen offset:12
	buffer_load_dword v0, off, s[0:3], 0 offset:60
	ds_write2_b32 v90, v1, v2 offset0:2 offset1:3
	ds_write2_b32 v90, v3, v5 offset1:1
	buffer_store_dword v6, v93, s[0:3], 0 offen
	buffer_store_dword v7, v93, s[0:3], 0 offen offset:4
	buffer_store_dword v8, v93, s[0:3], 0 offen offset:8
	buffer_store_dword v3, v91, s[0:3], 0 offen
	buffer_store_dword v5, v91, s[0:3], 0 offen offset:4
	buffer_store_dword v1, v91, s[0:3], 0 offen offset:8
	;; [unrolled: 1-line block ×3, first 2 shown]
.LBB2_328:                              ;   in Loop: Header=BB2_227 Depth=2
	s_or_b64 exec, exec, s[6:7]
	buffer_load_dword v1, off, s[0:3], 0 offset:44
                                        ; implicit-def: $sgpr4_sgpr5
	s_waitcnt vmcnt(0)
	v_cmp_ne_u32_e32 vcc, v0, v1
	s_and_saveexec_b64 s[6:7], vcc
	s_xor_b64 s[6:7], exec, s[6:7]
	s_cbranch_execnz .LBB2_421
; %bb.329:                              ;   in Loop: Header=BB2_227 Depth=2
	s_andn2_saveexec_b64 s[6:7], s[6:7]
	s_cbranch_execnz .LBB2_422
.LBB2_330:                              ;   in Loop: Header=BB2_227 Depth=2
	s_or_b64 exec, exec, s[6:7]
	s_and_saveexec_b64 s[6:7], s[4:5]
	s_cbranch_execz .LBB2_332
.LBB2_331:                              ;   in Loop: Header=BB2_227 Depth=2
	buffer_load_dword v0, v93, s[0:3], 0 offen offset:8
	buffer_load_dword v1, v93, s[0:3], 0 offen offset:12
	buffer_load_dword v2, v93, s[0:3], 0 offen
	buffer_load_dword v3, v93, s[0:3], 0 offen offset:4
	buffer_load_dword v5, v92, s[0:3], 0 offen
	buffer_load_dword v6, v92, s[0:3], 0 offen offset:4
	buffer_load_dword v7, v92, s[0:3], 0 offen offset:8
	;; [unrolled: 1-line block ×3, first 2 shown]
	s_waitcnt vmcnt(0)
	ds_write2_b32 v90, v0, v1 offset0:2 offset1:3
	ds_write2_b32 v90, v2, v3 offset1:1
	buffer_store_dword v5, v93, s[0:3], 0 offen
	buffer_store_dword v6, v93, s[0:3], 0 offen offset:4
	buffer_store_dword v7, v93, s[0:3], 0 offen offset:8
	;; [unrolled: 1-line block ×3, first 2 shown]
	buffer_store_dword v2, v92, s[0:3], 0 offen
	buffer_store_dword v3, v92, s[0:3], 0 offen offset:4
	buffer_store_dword v0, v92, s[0:3], 0 offen offset:8
	;; [unrolled: 1-line block ×3, first 2 shown]
.LBB2_332:                              ;   in Loop: Header=BB2_227 Depth=2
	s_or_b64 exec, exec, s[6:7]
	buffer_load_dword v30, off, s[0:3], 0 offset:12
	buffer_load_dword v29, off, s[0:3], 0 offset:28
	s_waitcnt vmcnt(0)
	v_cmp_lt_i32_e32 vcc, v30, v29
	s_and_saveexec_b64 s[6:7], vcc
	s_cbranch_execz .LBB2_543
; %bb.333:                              ;   in Loop: Header=BB2_227 Depth=2
	s_load_dwordx2 s[8:9], s[64:65], 0x50
	v_readfirstlane_b32 s4, v98
	v_cmp_eq_u32_e64 s[4:5], s4, v98
	v_pk_mov_b32 v[6:7], 0, 0
	s_and_saveexec_b64 s[16:17], s[4:5]
	s_cbranch_execz .LBB2_339
; %bb.334:                              ;   in Loop: Header=BB2_227 Depth=2
	s_waitcnt lgkmcnt(0)
	global_load_dwordx2 v[2:3], v47, s[8:9] offset:24 glc
	s_waitcnt vmcnt(0)
	buffer_invl2
	buffer_wbinvl1_vol
	global_load_dwordx2 v[0:1], v47, s[8:9] offset:40
	global_load_dwordx2 v[6:7], v47, s[8:9]
	s_waitcnt vmcnt(1)
	v_and_b32_e32 v0, v0, v2
	v_and_b32_e32 v1, v1, v3
	v_mul_lo_u32 v1, v1, 24
	v_mul_hi_u32 v5, v0, 24
	v_mul_lo_u32 v0, v0, 24
	v_add_u32_e32 v1, v5, v1
	s_waitcnt vmcnt(0)
	v_add_co_u32_e32 v0, vcc, v6, v0
	v_addc_co_u32_e32 v1, vcc, v7, v1, vcc
	global_load_dwordx2 v[0:1], v[0:1], off glc
	s_waitcnt vmcnt(0)
	global_atomic_cmpswap_x2 v[6:7], v47, v[0:3], s[8:9] offset:24 glc
	s_waitcnt vmcnt(0)
	buffer_invl2
	buffer_wbinvl1_vol
	v_cmp_ne_u64_e32 vcc, v[6:7], v[2:3]
	s_and_saveexec_b64 s[18:19], vcc
	s_cbranch_execz .LBB2_338
; %bb.335:                              ;   in Loop: Header=BB2_227 Depth=2
	s_mov_b64 s[20:21], 0
.LBB2_336:                              ;   Parent Loop BB2_13 Depth=1
                                        ;     Parent Loop BB2_227 Depth=2
                                        ; =>    This Inner Loop Header: Depth=3
	s_sleep 1
	global_load_dwordx2 v[0:1], v47, s[8:9] offset:40
	global_load_dwordx2 v[8:9], v47, s[8:9]
	v_pk_mov_b32 v[2:3], v[6:7], v[6:7] op_sel:[0,1]
	s_waitcnt vmcnt(1)
	v_and_b32_e32 v0, v0, v2
	v_and_b32_e32 v5, v1, v3
	s_waitcnt vmcnt(0)
	v_mad_u64_u32 v[0:1], s[22:23], v0, 24, v[8:9]
	v_mov_b32_e32 v6, v1
	v_mad_u64_u32 v[6:7], s[22:23], v5, 24, v[6:7]
	v_mov_b32_e32 v1, v6
	global_load_dwordx2 v[0:1], v[0:1], off glc
	s_waitcnt vmcnt(0)
	global_atomic_cmpswap_x2 v[6:7], v47, v[0:3], s[8:9] offset:24 glc
	s_waitcnt vmcnt(0)
	buffer_invl2
	buffer_wbinvl1_vol
	v_cmp_eq_u64_e32 vcc, v[6:7], v[2:3]
	s_or_b64 s[20:21], vcc, s[20:21]
	s_andn2_b64 exec, exec, s[20:21]
	s_cbranch_execnz .LBB2_336
; %bb.337:                              ;   in Loop: Header=BB2_227 Depth=2
	s_or_b64 exec, exec, s[20:21]
.LBB2_338:                              ;   in Loop: Header=BB2_227 Depth=2
	s_or_b64 exec, exec, s[18:19]
.LBB2_339:                              ;   in Loop: Header=BB2_227 Depth=2
	s_or_b64 exec, exec, s[16:17]
	s_waitcnt lgkmcnt(0)
	global_load_dwordx2 v[8:9], v47, s[8:9] offset:40
	global_load_dwordx4 v[0:3], v47, s[8:9]
	v_readfirstlane_b32 s16, v6
	v_readfirstlane_b32 s17, v7
	s_mov_b64 s[18:19], exec
	s_waitcnt vmcnt(1)
	v_readfirstlane_b32 s20, v8
	v_readfirstlane_b32 s21, v9
	s_and_b64 s[20:21], s[16:17], s[20:21]
	s_mul_i32 s22, s21, 24
	s_mul_hi_u32 s23, s20, 24
	s_mul_i32 s24, s20, 24
	s_add_i32 s22, s23, s22
	v_mov_b32_e32 v5, s22
	s_waitcnt vmcnt(0)
	v_add_co_u32_e32 v6, vcc, s24, v0
	v_addc_co_u32_e32 v7, vcc, v1, v5, vcc
	s_and_saveexec_b64 s[22:23], s[4:5]
	s_cbranch_execz .LBB2_341
; %bb.340:                              ;   in Loop: Header=BB2_227 Depth=2
	v_pk_mov_b32 v[56:57], s[18:19], s[18:19] op_sel:[0,1]
	global_store_dwordx4 v[6:7], v[56:59], off offset:8
.LBB2_341:                              ;   in Loop: Header=BB2_227 Depth=2
	s_or_b64 exec, exec, s[22:23]
	s_lshl_b64 s[18:19], s[20:21], 12
	v_mov_b32_e32 v5, s19
	v_add_co_u32_e32 v8, vcc, s18, v2
	s_mov_b32 s61, s60
	v_addc_co_u32_e32 v5, vcc, v3, v5, vcc
	s_mov_b32 s62, s60
	s_mov_b32 s63, s60
	v_pk_mov_b32 v[10:11], s[60:61], s[60:61] op_sel:[0,1]
	v_lshlrev_b32_e32 v31, 6, v98
	v_mov_b32_e32 v45, v47
	v_mov_b32_e32 v46, v47
	v_readfirstlane_b32 s18, v8
	v_readfirstlane_b32 s19, v5
	v_pk_mov_b32 v[12:13], s[62:63], s[62:63] op_sel:[0,1]
	s_nop 3
	global_store_dwordx4 v31, v[44:47], s[18:19]
	global_store_dwordx4 v31, v[10:13], s[18:19] offset:16
	global_store_dwordx4 v31, v[10:13], s[18:19] offset:32
	;; [unrolled: 1-line block ×3, first 2 shown]
	s_and_saveexec_b64 s[18:19], s[4:5]
	s_cbranch_execz .LBB2_349
; %bb.342:                              ;   in Loop: Header=BB2_227 Depth=2
	global_load_dwordx2 v[14:15], v47, s[8:9] offset:32 glc
	global_load_dwordx2 v[2:3], v47, s[8:9] offset:40
	v_mov_b32_e32 v12, s16
	v_mov_b32_e32 v13, s17
	s_waitcnt vmcnt(0)
	v_and_b32_e32 v2, s16, v2
	v_and_b32_e32 v3, s17, v3
	v_mul_lo_u32 v3, v3, 24
	v_mul_hi_u32 v9, v2, 24
	v_mul_lo_u32 v2, v2, 24
	v_add_u32_e32 v3, v9, v3
	v_add_co_u32_e32 v10, vcc, v0, v2
	v_addc_co_u32_e32 v11, vcc, v1, v3, vcc
	global_store_dwordx2 v[10:11], v[14:15], off
	buffer_wbl2
	s_waitcnt vmcnt(0)
	global_atomic_cmpswap_x2 v[2:3], v47, v[12:15], s[8:9] offset:32 glc
	s_waitcnt vmcnt(0)
	v_cmp_ne_u64_e32 vcc, v[2:3], v[14:15]
	s_and_saveexec_b64 s[20:21], vcc
	s_cbranch_execz .LBB2_345
; %bb.343:                              ;   in Loop: Header=BB2_227 Depth=2
	s_mov_b64 s[22:23], 0
.LBB2_344:                              ;   Parent Loop BB2_13 Depth=1
                                        ;     Parent Loop BB2_227 Depth=2
                                        ; =>    This Inner Loop Header: Depth=3
	s_sleep 1
	global_store_dwordx2 v[10:11], v[2:3], off
	v_mov_b32_e32 v0, s16
	v_mov_b32_e32 v1, s17
	buffer_wbl2
	s_waitcnt vmcnt(0)
	global_atomic_cmpswap_x2 v[0:1], v47, v[0:3], s[8:9] offset:32 glc
	s_waitcnt vmcnt(0)
	v_cmp_eq_u64_e32 vcc, v[0:1], v[2:3]
	s_or_b64 s[22:23], vcc, s[22:23]
	v_pk_mov_b32 v[2:3], v[0:1], v[0:1] op_sel:[0,1]
	s_andn2_b64 exec, exec, s[22:23]
	s_cbranch_execnz .LBB2_344
.LBB2_345:                              ;   in Loop: Header=BB2_227 Depth=2
	s_or_b64 exec, exec, s[20:21]
	global_load_dwordx2 v[0:1], v47, s[8:9] offset:16
	s_mov_b64 s[22:23], exec
	v_mbcnt_lo_u32_b32 v2, s22, 0
	v_mbcnt_hi_u32_b32 v2, s23, v2
	v_cmp_eq_u32_e32 vcc, 0, v2
	s_and_saveexec_b64 s[20:21], vcc
	s_cbranch_execz .LBB2_347
; %bb.346:                              ;   in Loop: Header=BB2_227 Depth=2
	s_bcnt1_i32_b64 s22, s[22:23]
	v_mov_b32_e32 v46, s22
	buffer_wbl2
	s_waitcnt vmcnt(0)
	global_atomic_add_x2 v[0:1], v[46:47], off offset:8
.LBB2_347:                              ;   in Loop: Header=BB2_227 Depth=2
	s_or_b64 exec, exec, s[20:21]
	s_waitcnt vmcnt(0)
	global_load_dwordx2 v[2:3], v[0:1], off offset:16
	s_waitcnt vmcnt(0)
	v_cmp_eq_u64_e32 vcc, 0, v[2:3]
	s_cbranch_vccnz .LBB2_349
; %bb.348:                              ;   in Loop: Header=BB2_227 Depth=2
	global_load_dword v46, v[0:1], off offset:24
	s_waitcnt vmcnt(0)
	v_and_b32_e32 v0, 0xffffff, v46
	v_readfirstlane_b32 m0, v0
	buffer_wbl2
	global_store_dwordx2 v[2:3], v[46:47], off
	s_sendmsg sendmsg(MSG_INTERRUPT)
.LBB2_349:                              ;   in Loop: Header=BB2_227 Depth=2
	s_or_b64 exec, exec, s[18:19]
	v_add_co_u32_e32 v0, vcc, v8, v31
	v_addc_co_u32_e32 v1, vcc, 0, v5, vcc
	s_branch .LBB2_353
.LBB2_350:                              ;   in Loop: Header=BB2_353 Depth=3
	s_or_b64 exec, exec, s[18:19]
	v_readfirstlane_b32 s18, v2
	s_cmp_eq_u32 s18, 0
	s_cbranch_scc1 .LBB2_352
; %bb.351:                              ;   in Loop: Header=BB2_353 Depth=3
	s_sleep 1
	s_cbranch_execnz .LBB2_353
	s_branch .LBB2_427
.LBB2_352:                              ;   in Loop: Header=BB2_227 Depth=2
	s_branch .LBB2_427
.LBB2_353:                              ;   Parent Loop BB2_13 Depth=1
                                        ;     Parent Loop BB2_227 Depth=2
                                        ; =>    This Inner Loop Header: Depth=3
	v_mov_b32_e32 v2, 1
	s_and_saveexec_b64 s[18:19], s[4:5]
	s_cbranch_execz .LBB2_350
; %bb.354:                              ;   in Loop: Header=BB2_353 Depth=3
	global_load_dword v2, v[6:7], off offset:20 glc
	s_waitcnt vmcnt(0)
	buffer_invl2
	buffer_wbinvl1_vol
	v_and_b32_e32 v2, 1, v2
	s_branch .LBB2_350
.LBB2_355:                              ;   in Loop: Header=BB2_227 Depth=2
	v_cmp_gt_u32_e32 vcc, v5, v16
	s_and_b64 s[4:5], vcc, exec
	s_andn2_saveexec_b64 s[6:7], s[6:7]
	s_cbranch_execz .LBB2_286
.LBB2_356:                              ;   in Loop: Header=BB2_227 Depth=2
	v_cmp_ne_u32_e32 vcc, v6, v7
                                        ; implicit-def: $sgpr8_sgpr9
	s_and_saveexec_b64 s[16:17], vcc
	s_xor_b64 s[16:17], exec, s[16:17]
; %bb.357:                              ;   in Loop: Header=BB2_227 Depth=2
	v_cmp_gt_u32_e32 vcc, v6, v7
	s_and_b64 s[8:9], vcc, exec
; %bb.358:                              ;   in Loop: Header=BB2_227 Depth=2
	s_andn2_saveexec_b64 s[16:17], s[16:17]
; %bb.359:                              ;   in Loop: Header=BB2_227 Depth=2
	v_cmp_ge_u32_e32 vcc, v0, v1
	s_andn2_b64 s[8:9], s[8:9], exec
	s_and_b64 s[18:19], vcc, exec
	s_or_b64 s[8:9], s[8:9], s[18:19]
; %bb.360:                              ;   in Loop: Header=BB2_227 Depth=2
	s_or_b64 exec, exec, s[16:17]
	s_andn2_b64 s[4:5], s[4:5], exec
	s_and_b64 s[8:9], s[8:9], exec
	s_or_b64 s[4:5], s[4:5], s[8:9]
	s_or_b64 exec, exec, s[6:7]
	s_and_saveexec_b64 s[6:7], s[4:5]
	s_cbranch_execnz .LBB2_287
	s_branch .LBB2_288
.LBB2_361:                              ;   in Loop: Header=BB2_227 Depth=2
	v_cmp_gt_u32_e32 vcc, v5, v15
	s_and_b64 s[4:5], vcc, exec
	s_andn2_saveexec_b64 s[6:7], s[6:7]
	s_cbranch_execz .LBB2_290
.LBB2_362:                              ;   in Loop: Header=BB2_227 Depth=2
	buffer_load_dword v0, off, s[0:3], 0 offset:4
                                        ; implicit-def: $sgpr8_sgpr9
	s_waitcnt vmcnt(0)
	v_cmp_ne_u32_e32 vcc, v0, v8
	s_and_saveexec_b64 s[16:17], vcc
	s_xor_b64 s[16:17], exec, s[16:17]
; %bb.363:                              ;   in Loop: Header=BB2_227 Depth=2
	v_cmp_gt_u32_e32 vcc, v0, v8
	s_and_b64 s[8:9], vcc, exec
; %bb.364:                              ;   in Loop: Header=BB2_227 Depth=2
	s_andn2_saveexec_b64 s[16:17], s[16:17]
	s_cbranch_execz .LBB2_366
; %bb.365:                              ;   in Loop: Header=BB2_227 Depth=2
	buffer_load_dword v0, off, s[0:3], 0 offset:8
	s_andn2_b64 s[8:9], s[8:9], exec
	s_waitcnt vmcnt(0)
	v_cmp_ge_u32_e32 vcc, v0, v2
	s_and_b64 s[18:19], vcc, exec
	s_or_b64 s[8:9], s[8:9], s[18:19]
.LBB2_366:                              ;   in Loop: Header=BB2_227 Depth=2
	s_or_b64 exec, exec, s[16:17]
	s_andn2_b64 s[4:5], s[4:5], exec
	s_and_b64 s[8:9], s[8:9], exec
	s_or_b64 s[4:5], s[4:5], s[8:9]
	s_or_b64 exec, exec, s[6:7]
	s_and_saveexec_b64 s[6:7], s[4:5]
	s_cbranch_execnz .LBB2_291
	s_branch .LBB2_292
.LBB2_367:                              ;   in Loop: Header=BB2_227 Depth=2
	v_cmp_gt_u32_e32 vcc, v5, v14
	s_and_b64 s[4:5], vcc, exec
                                        ; implicit-def: $vgpr0_vgpr1_vgpr2_vgpr3
                                        ; implicit-def: $vgpr6_vgpr7_vgpr8_vgpr9
	s_andn2_saveexec_b64 s[6:7], s[6:7]
	s_cbranch_execz .LBB2_294
.LBB2_368:                              ;   in Loop: Header=BB2_227 Depth=2
	buffer_load_dword v0, off, s[0:3], 0 offset:4
                                        ; implicit-def: $sgpr8_sgpr9
	s_waitcnt vmcnt(0)
	v_cmp_ne_u32_e32 vcc, v0, v9
	s_and_saveexec_b64 s[16:17], vcc
	s_xor_b64 s[16:17], exec, s[16:17]
; %bb.369:                              ;   in Loop: Header=BB2_227 Depth=2
	v_cmp_gt_u32_e32 vcc, v0, v9
	s_and_b64 s[8:9], vcc, exec
                                        ; implicit-def: $vgpr0_vgpr1_vgpr2_vgpr3
; %bb.370:                              ;   in Loop: Header=BB2_227 Depth=2
	s_andn2_saveexec_b64 s[16:17], s[16:17]
	s_cbranch_execz .LBB2_372
; %bb.371:                              ;   in Loop: Header=BB2_227 Depth=2
	buffer_load_dword v0, off, s[0:3], 0 offset:8
	s_andn2_b64 s[8:9], s[8:9], exec
	s_waitcnt vmcnt(0)
	v_cmp_ge_u32_e32 vcc, v0, v3
	s_and_b64 s[18:19], vcc, exec
	s_or_b64 s[8:9], s[8:9], s[18:19]
.LBB2_372:                              ;   in Loop: Header=BB2_227 Depth=2
	s_or_b64 exec, exec, s[16:17]
	s_andn2_b64 s[4:5], s[4:5], exec
	s_and_b64 s[8:9], s[8:9], exec
	s_or_b64 s[4:5], s[4:5], s[8:9]
	s_or_b64 exec, exec, s[6:7]
	s_and_saveexec_b64 s[6:7], s[4:5]
	s_cbranch_execnz .LBB2_295
	s_branch .LBB2_296
.LBB2_373:                              ;   in Loop: Header=BB2_227 Depth=2
	v_cmp_gt_u32_e32 vcc, v0, v5
	s_and_b64 s[4:5], vcc, exec
	s_andn2_saveexec_b64 s[6:7], s[6:7]
	s_cbranch_execz .LBB2_298
.LBB2_374:                              ;   in Loop: Header=BB2_227 Depth=2
	buffer_load_dword v1, off, s[0:3], 0 offset:4
	buffer_load_dword v2, off, s[0:3], 0 offset:20
                                        ; implicit-def: $sgpr8_sgpr9
	s_waitcnt vmcnt(0)
	v_cmp_ne_u32_e32 vcc, v2, v1
	s_and_saveexec_b64 s[16:17], vcc
	s_xor_b64 s[16:17], exec, s[16:17]
; %bb.375:                              ;   in Loop: Header=BB2_227 Depth=2
	v_cmp_gt_u32_e32 vcc, v2, v1
	s_and_b64 s[8:9], vcc, exec
; %bb.376:                              ;   in Loop: Header=BB2_227 Depth=2
	s_andn2_saveexec_b64 s[16:17], s[16:17]
	s_cbranch_execz .LBB2_378
; %bb.377:                              ;   in Loop: Header=BB2_227 Depth=2
	buffer_load_dword v1, off, s[0:3], 0 offset:8
	buffer_load_dword v2, off, s[0:3], 0 offset:24
	s_andn2_b64 s[8:9], s[8:9], exec
	s_waitcnt vmcnt(0)
	v_cmp_ge_u32_e32 vcc, v2, v1
	s_and_b64 s[18:19], vcc, exec
	s_or_b64 s[8:9], s[8:9], s[18:19]
.LBB2_378:                              ;   in Loop: Header=BB2_227 Depth=2
	s_or_b64 exec, exec, s[16:17]
	s_andn2_b64 s[4:5], s[4:5], exec
	s_and_b64 s[8:9], s[8:9], exec
	s_or_b64 s[4:5], s[4:5], s[8:9]
	s_or_b64 exec, exec, s[6:7]
	s_and_saveexec_b64 s[6:7], s[4:5]
	s_cbranch_execnz .LBB2_299
	s_branch .LBB2_300
.LBB2_379:                              ;   in Loop: Header=BB2_227 Depth=2
	v_cmp_gt_u32_e32 vcc, v0, v1
	s_and_b64 s[4:5], vcc, exec
	s_andn2_saveexec_b64 s[6:7], s[6:7]
	s_cbranch_execz .LBB2_302
.LBB2_380:                              ;   in Loop: Header=BB2_227 Depth=2
	buffer_load_dword v1, off, s[0:3], 0 offset:20
	buffer_load_dword v2, off, s[0:3], 0 offset:36
                                        ; implicit-def: $sgpr8_sgpr9
	s_waitcnt vmcnt(0)
	v_cmp_ne_u32_e32 vcc, v1, v2
	s_and_saveexec_b64 s[16:17], vcc
	s_xor_b64 s[16:17], exec, s[16:17]
; %bb.381:                              ;   in Loop: Header=BB2_227 Depth=2
	v_cmp_gt_u32_e32 vcc, v1, v2
	s_and_b64 s[8:9], vcc, exec
; %bb.382:                              ;   in Loop: Header=BB2_227 Depth=2
	s_andn2_saveexec_b64 s[16:17], s[16:17]
	s_cbranch_execz .LBB2_384
; %bb.383:                              ;   in Loop: Header=BB2_227 Depth=2
	buffer_load_dword v1, off, s[0:3], 0 offset:24
	buffer_load_dword v2, off, s[0:3], 0 offset:40
	s_andn2_b64 s[8:9], s[8:9], exec
	s_waitcnt vmcnt(0)
	v_cmp_ge_u32_e32 vcc, v1, v2
	s_and_b64 s[18:19], vcc, exec
	s_or_b64 s[8:9], s[8:9], s[18:19]
.LBB2_384:                              ;   in Loop: Header=BB2_227 Depth=2
	s_or_b64 exec, exec, s[16:17]
	s_andn2_b64 s[4:5], s[4:5], exec
	s_and_b64 s[8:9], s[8:9], exec
	s_or_b64 s[4:5], s[4:5], s[8:9]
	s_or_b64 exec, exec, s[6:7]
	s_and_saveexec_b64 s[6:7], s[4:5]
	s_cbranch_execnz .LBB2_303
	s_branch .LBB2_304
.LBB2_385:                              ;   in Loop: Header=BB2_227 Depth=2
	v_cmp_gt_u32_e32 vcc, v0, v1
	s_and_b64 s[4:5], vcc, exec
	s_andn2_saveexec_b64 s[6:7], s[6:7]
	s_cbranch_execz .LBB2_306
.LBB2_386:                              ;   in Loop: Header=BB2_227 Depth=2
	buffer_load_dword v0, off, s[0:3], 0 offset:20
	buffer_load_dword v1, off, s[0:3], 0 offset:52
                                        ; implicit-def: $sgpr8_sgpr9
	s_waitcnt vmcnt(0)
	v_cmp_ne_u32_e32 vcc, v0, v1
	s_and_saveexec_b64 s[16:17], vcc
	s_xor_b64 s[16:17], exec, s[16:17]
; %bb.387:                              ;   in Loop: Header=BB2_227 Depth=2
	v_cmp_gt_u32_e32 vcc, v0, v1
	s_and_b64 s[8:9], vcc, exec
; %bb.388:                              ;   in Loop: Header=BB2_227 Depth=2
	s_andn2_saveexec_b64 s[16:17], s[16:17]
	s_cbranch_execz .LBB2_390
; %bb.389:                              ;   in Loop: Header=BB2_227 Depth=2
	buffer_load_dword v0, off, s[0:3], 0 offset:24
	buffer_load_dword v1, off, s[0:3], 0 offset:56
	s_andn2_b64 s[8:9], s[8:9], exec
	s_waitcnt vmcnt(0)
	v_cmp_ge_u32_e32 vcc, v0, v1
	s_and_b64 s[18:19], vcc, exec
	s_or_b64 s[8:9], s[8:9], s[18:19]
.LBB2_390:                              ;   in Loop: Header=BB2_227 Depth=2
	s_or_b64 exec, exec, s[16:17]
	s_andn2_b64 s[4:5], s[4:5], exec
	s_and_b64 s[8:9], s[8:9], exec
	s_or_b64 s[4:5], s[4:5], s[8:9]
	s_or_b64 exec, exec, s[6:7]
	s_and_saveexec_b64 s[6:7], s[4:5]
	s_cbranch_execnz .LBB2_307
	s_branch .LBB2_308
.LBB2_391:                              ;   in Loop: Header=BB2_227 Depth=2
	v_cmp_gt_u32_e32 vcc, v1, v0
	s_and_b64 s[4:5], vcc, exec
	s_andn2_saveexec_b64 s[6:7], s[6:7]
	s_cbranch_execz .LBB2_310
.LBB2_392:                              ;   in Loop: Header=BB2_227 Depth=2
	buffer_load_dword v0, off, s[0:3], 0 offset:4
	buffer_load_dword v2, off, s[0:3], 0 offset:36
                                        ; implicit-def: $sgpr8_sgpr9
	s_waitcnt vmcnt(0)
	v_cmp_ne_u32_e32 vcc, v2, v0
	s_and_saveexec_b64 s[16:17], vcc
	s_xor_b64 s[16:17], exec, s[16:17]
; %bb.393:                              ;   in Loop: Header=BB2_227 Depth=2
	v_cmp_gt_u32_e32 vcc, v2, v0
	s_and_b64 s[8:9], vcc, exec
; %bb.394:                              ;   in Loop: Header=BB2_227 Depth=2
	s_andn2_saveexec_b64 s[16:17], s[16:17]
	s_cbranch_execz .LBB2_396
; %bb.395:                              ;   in Loop: Header=BB2_227 Depth=2
	buffer_load_dword v0, off, s[0:3], 0 offset:8
	buffer_load_dword v2, off, s[0:3], 0 offset:40
	s_andn2_b64 s[8:9], s[8:9], exec
	s_waitcnt vmcnt(0)
	v_cmp_ge_u32_e32 vcc, v2, v0
	s_and_b64 s[18:19], vcc, exec
	s_or_b64 s[8:9], s[8:9], s[18:19]
.LBB2_396:                              ;   in Loop: Header=BB2_227 Depth=2
	s_or_b64 exec, exec, s[16:17]
	s_andn2_b64 s[4:5], s[4:5], exec
	s_and_b64 s[8:9], s[8:9], exec
	s_or_b64 s[4:5], s[4:5], s[8:9]
	s_or_b64 exec, exec, s[6:7]
	s_and_saveexec_b64 s[6:7], s[4:5]
	s_cbranch_execnz .LBB2_311
	s_branch .LBB2_312
.LBB2_397:                              ;   in Loop: Header=BB2_227 Depth=2
	v_cmp_gt_u32_e32 vcc, v1, v0
	s_and_b64 s[4:5], vcc, exec
	s_andn2_saveexec_b64 s[6:7], s[6:7]
	s_cbranch_execz .LBB2_314
.LBB2_398:                              ;   in Loop: Header=BB2_227 Depth=2
	buffer_load_dword v0, off, s[0:3], 0 offset:20
	buffer_load_dword v2, off, s[0:3], 0 offset:36
                                        ; implicit-def: $sgpr8_sgpr9
	s_waitcnt vmcnt(0)
	v_cmp_ne_u32_e32 vcc, v2, v0
	s_and_saveexec_b64 s[16:17], vcc
	s_xor_b64 s[16:17], exec, s[16:17]
; %bb.399:                              ;   in Loop: Header=BB2_227 Depth=2
	v_cmp_gt_u32_e32 vcc, v2, v0
	s_and_b64 s[8:9], vcc, exec
; %bb.400:                              ;   in Loop: Header=BB2_227 Depth=2
	s_andn2_saveexec_b64 s[16:17], s[16:17]
	s_cbranch_execz .LBB2_402
; %bb.401:                              ;   in Loop: Header=BB2_227 Depth=2
	buffer_load_dword v0, off, s[0:3], 0 offset:24
	buffer_load_dword v2, off, s[0:3], 0 offset:40
	s_andn2_b64 s[8:9], s[8:9], exec
	s_waitcnt vmcnt(0)
	v_cmp_ge_u32_e32 vcc, v2, v0
	s_and_b64 s[18:19], vcc, exec
	s_or_b64 s[8:9], s[8:9], s[18:19]
.LBB2_402:                              ;   in Loop: Header=BB2_227 Depth=2
	s_or_b64 exec, exec, s[16:17]
	s_andn2_b64 s[4:5], s[4:5], exec
	s_and_b64 s[8:9], s[8:9], exec
	s_or_b64 s[4:5], s[4:5], s[8:9]
	s_or_b64 exec, exec, s[6:7]
	s_and_saveexec_b64 s[6:7], s[4:5]
	s_cbranch_execnz .LBB2_315
	s_branch .LBB2_316
.LBB2_403:                              ;   in Loop: Header=BB2_227 Depth=2
	v_cmp_gt_u32_e32 vcc, v1, v0
	s_and_b64 s[4:5], vcc, exec
	s_andn2_saveexec_b64 s[6:7], s[6:7]
	s_cbranch_execz .LBB2_318
.LBB2_404:                              ;   in Loop: Header=BB2_227 Depth=2
	buffer_load_dword v1, off, s[0:3], 0 offset:36
	buffer_load_dword v2, off, s[0:3], 0 offset:52
                                        ; implicit-def: $sgpr8_sgpr9
	s_waitcnt vmcnt(0)
	v_cmp_ne_u32_e32 vcc, v1, v2
	s_and_saveexec_b64 s[16:17], vcc
	s_xor_b64 s[16:17], exec, s[16:17]
; %bb.405:                              ;   in Loop: Header=BB2_227 Depth=2
	v_cmp_gt_u32_e32 vcc, v1, v2
	s_and_b64 s[8:9], vcc, exec
; %bb.406:                              ;   in Loop: Header=BB2_227 Depth=2
	s_andn2_saveexec_b64 s[16:17], s[16:17]
	s_cbranch_execz .LBB2_408
; %bb.407:                              ;   in Loop: Header=BB2_227 Depth=2
	buffer_load_dword v1, off, s[0:3], 0 offset:40
	buffer_load_dword v2, off, s[0:3], 0 offset:56
	s_andn2_b64 s[8:9], s[8:9], exec
	s_waitcnt vmcnt(0)
	v_cmp_ge_u32_e32 vcc, v1, v2
	s_and_b64 s[18:19], vcc, exec
	s_or_b64 s[8:9], s[8:9], s[18:19]
.LBB2_408:                              ;   in Loop: Header=BB2_227 Depth=2
	s_or_b64 exec, exec, s[16:17]
	s_andn2_b64 s[4:5], s[4:5], exec
	s_and_b64 s[8:9], s[8:9], exec
	s_or_b64 s[4:5], s[4:5], s[8:9]
	s_or_b64 exec, exec, s[6:7]
	s_and_saveexec_b64 s[6:7], s[4:5]
	s_cbranch_execnz .LBB2_319
	s_branch .LBB2_320
.LBB2_409:                              ;   in Loop: Header=BB2_227 Depth=2
	v_cmp_gt_u32_e32 vcc, v0, v1
	s_and_b64 s[4:5], vcc, exec
	s_andn2_saveexec_b64 s[6:7], s[6:7]
	s_cbranch_execz .LBB2_322
.LBB2_410:                              ;   in Loop: Header=BB2_227 Depth=2
	buffer_load_dword v1, off, s[0:3], 0 offset:4
	buffer_load_dword v2, off, s[0:3], 0 offset:52
                                        ; implicit-def: $sgpr8_sgpr9
	s_waitcnt vmcnt(0)
	v_cmp_ne_u32_e32 vcc, v2, v1
	s_and_saveexec_b64 s[16:17], vcc
	s_xor_b64 s[16:17], exec, s[16:17]
; %bb.411:                              ;   in Loop: Header=BB2_227 Depth=2
	v_cmp_gt_u32_e32 vcc, v2, v1
	s_and_b64 s[8:9], vcc, exec
; %bb.412:                              ;   in Loop: Header=BB2_227 Depth=2
	s_andn2_saveexec_b64 s[16:17], s[16:17]
	s_cbranch_execz .LBB2_414
; %bb.413:                              ;   in Loop: Header=BB2_227 Depth=2
	buffer_load_dword v1, off, s[0:3], 0 offset:8
	buffer_load_dword v2, off, s[0:3], 0 offset:56
	s_andn2_b64 s[8:9], s[8:9], exec
	s_waitcnt vmcnt(0)
	v_cmp_ge_u32_e32 vcc, v2, v1
	s_and_b64 s[18:19], vcc, exec
	s_or_b64 s[8:9], s[8:9], s[18:19]
.LBB2_414:                              ;   in Loop: Header=BB2_227 Depth=2
	s_or_b64 exec, exec, s[16:17]
	s_andn2_b64 s[4:5], s[4:5], exec
	s_and_b64 s[8:9], s[8:9], exec
	s_or_b64 s[4:5], s[4:5], s[8:9]
	s_or_b64 exec, exec, s[6:7]
	s_and_saveexec_b64 s[6:7], s[4:5]
	s_cbranch_execnz .LBB2_323
	s_branch .LBB2_324
.LBB2_415:                              ;   in Loop: Header=BB2_227 Depth=2
	v_cmp_gt_u32_e32 vcc, v0, v1
	s_and_b64 s[4:5], vcc, exec
	s_andn2_saveexec_b64 s[6:7], s[6:7]
	s_cbranch_execz .LBB2_326
.LBB2_416:                              ;   in Loop: Header=BB2_227 Depth=2
	buffer_load_dword v1, off, s[0:3], 0 offset:20
	buffer_load_dword v2, off, s[0:3], 0 offset:52
                                        ; implicit-def: $sgpr8_sgpr9
	s_waitcnt vmcnt(0)
	v_cmp_ne_u32_e32 vcc, v2, v1
	s_and_saveexec_b64 s[16:17], vcc
	s_xor_b64 s[16:17], exec, s[16:17]
; %bb.417:                              ;   in Loop: Header=BB2_227 Depth=2
	v_cmp_gt_u32_e32 vcc, v2, v1
	s_and_b64 s[8:9], vcc, exec
; %bb.418:                              ;   in Loop: Header=BB2_227 Depth=2
	s_andn2_saveexec_b64 s[16:17], s[16:17]
	s_cbranch_execz .LBB2_420
; %bb.419:                              ;   in Loop: Header=BB2_227 Depth=2
	buffer_load_dword v1, off, s[0:3], 0 offset:24
	buffer_load_dword v2, off, s[0:3], 0 offset:56
	s_andn2_b64 s[8:9], s[8:9], exec
	s_waitcnt vmcnt(0)
	v_cmp_ge_u32_e32 vcc, v2, v1
	s_and_b64 s[18:19], vcc, exec
	s_or_b64 s[8:9], s[8:9], s[18:19]
.LBB2_420:                              ;   in Loop: Header=BB2_227 Depth=2
	s_or_b64 exec, exec, s[16:17]
	s_andn2_b64 s[4:5], s[4:5], exec
	s_and_b64 s[8:9], s[8:9], exec
	s_or_b64 s[4:5], s[4:5], s[8:9]
	s_or_b64 exec, exec, s[6:7]
	s_and_saveexec_b64 s[6:7], s[4:5]
	s_cbranch_execnz .LBB2_327
	s_branch .LBB2_328
.LBB2_421:                              ;   in Loop: Header=BB2_227 Depth=2
	v_cmp_gt_u32_e32 vcc, v0, v1
	s_and_b64 s[4:5], vcc, exec
	s_andn2_saveexec_b64 s[6:7], s[6:7]
	s_cbranch_execz .LBB2_330
.LBB2_422:                              ;   in Loop: Header=BB2_227 Depth=2
	buffer_load_dword v0, off, s[0:3], 0 offset:36
	buffer_load_dword v1, off, s[0:3], 0 offset:52
                                        ; implicit-def: $sgpr8_sgpr9
	s_waitcnt vmcnt(0)
	v_cmp_ne_u32_e32 vcc, v1, v0
	s_and_saveexec_b64 s[16:17], vcc
	s_xor_b64 s[16:17], exec, s[16:17]
; %bb.423:                              ;   in Loop: Header=BB2_227 Depth=2
	v_cmp_gt_u32_e32 vcc, v1, v0
	s_and_b64 s[8:9], vcc, exec
; %bb.424:                              ;   in Loop: Header=BB2_227 Depth=2
	s_andn2_saveexec_b64 s[16:17], s[16:17]
	s_cbranch_execz .LBB2_426
; %bb.425:                              ;   in Loop: Header=BB2_227 Depth=2
	buffer_load_dword v0, off, s[0:3], 0 offset:40
	buffer_load_dword v1, off, s[0:3], 0 offset:56
	s_andn2_b64 s[8:9], s[8:9], exec
	s_waitcnt vmcnt(0)
	v_cmp_ge_u32_e32 vcc, v1, v0
	s_and_b64 s[18:19], vcc, exec
	s_or_b64 s[8:9], s[8:9], s[18:19]
.LBB2_426:                              ;   in Loop: Header=BB2_227 Depth=2
	s_or_b64 exec, exec, s[16:17]
	s_andn2_b64 s[4:5], s[4:5], exec
	s_and_b64 s[8:9], s[8:9], exec
	s_or_b64 s[4:5], s[4:5], s[8:9]
	s_or_b64 exec, exec, s[6:7]
	s_and_saveexec_b64 s[6:7], s[4:5]
	s_cbranch_execnz .LBB2_331
	s_branch .LBB2_332
.LBB2_427:                              ;   in Loop: Header=BB2_227 Depth=2
	global_load_dwordx2 v[0:1], v[0:1], off
	s_and_saveexec_b64 s[18:19], s[4:5]
	s_cbranch_execz .LBB2_431
; %bb.428:                              ;   in Loop: Header=BB2_227 Depth=2
	global_load_dwordx2 v[2:3], v47, s[8:9] offset:40
	global_load_dwordx2 v[10:11], v47, s[8:9] offset:24 glc
	global_load_dwordx2 v[12:13], v47, s[8:9]
	v_mov_b32_e32 v5, s17
	s_waitcnt vmcnt(2)
	v_add_co_u32_e32 v9, vcc, 1, v2
	v_addc_co_u32_e32 v14, vcc, 0, v3, vcc
	v_add_co_u32_e32 v6, vcc, s16, v9
	v_addc_co_u32_e32 v7, vcc, v14, v5, vcc
	v_cmp_eq_u64_e32 vcc, 0, v[6:7]
	v_cndmask_b32_e32 v7, v7, v14, vcc
	v_cndmask_b32_e32 v6, v6, v9, vcc
	v_and_b32_e32 v3, v7, v3
	v_and_b32_e32 v2, v6, v2
	v_mul_lo_u32 v3, v3, 24
	v_mul_hi_u32 v5, v2, 24
	v_mul_lo_u32 v2, v2, 24
	v_add_u32_e32 v3, v5, v3
	s_waitcnt vmcnt(0)
	v_add_co_u32_e32 v2, vcc, v12, v2
	v_addc_co_u32_e32 v3, vcc, v13, v3, vcc
	v_mov_b32_e32 v8, v10
	global_store_dwordx2 v[2:3], v[10:11], off
	v_mov_b32_e32 v9, v11
	buffer_wbl2
	s_waitcnt vmcnt(0)
	global_atomic_cmpswap_x2 v[8:9], v47, v[6:9], s[8:9] offset:24 glc
	s_waitcnt vmcnt(0)
	v_cmp_ne_u64_e32 vcc, v[8:9], v[10:11]
	s_and_b64 exec, exec, vcc
	s_cbranch_execz .LBB2_431
; %bb.429:                              ;   in Loop: Header=BB2_227 Depth=2
	s_mov_b64 s[4:5], 0
.LBB2_430:                              ;   Parent Loop BB2_13 Depth=1
                                        ;     Parent Loop BB2_227 Depth=2
                                        ; =>    This Inner Loop Header: Depth=3
	s_sleep 1
	global_store_dwordx2 v[2:3], v[8:9], off
	buffer_wbl2
	s_waitcnt vmcnt(0)
	global_atomic_cmpswap_x2 v[10:11], v47, v[6:9], s[8:9] offset:24 glc
	s_waitcnt vmcnt(0)
	v_cmp_eq_u64_e32 vcc, v[10:11], v[8:9]
	s_or_b64 s[4:5], vcc, s[4:5]
	v_pk_mov_b32 v[8:9], v[10:11], v[10:11] op_sel:[0,1]
	s_andn2_b64 exec, exec, s[4:5]
	s_cbranch_execnz .LBB2_430
.LBB2_431:                              ;   in Loop: Header=BB2_227 Depth=2
	s_or_b64 exec, exec, s[18:19]
	s_and_b64 vcc, exec, s[74:75]
	s_cbranch_vccz .LBB2_516
; %bb.432:                              ;   in Loop: Header=BB2_227 Depth=2
	s_waitcnt vmcnt(0)
	v_and_b32_e32 v6, -3, v0
	v_mov_b32_e32 v7, v1
	s_mov_b64 s[18:19], 53
	s_getpc_b64 s[16:17]
	s_add_u32 s16, s16, .str.4@rel32@lo+4
	s_addc_u32 s17, s17, .str.4@rel32@hi+12
	s_branch .LBB2_434
.LBB2_433:                              ;   in Loop: Header=BB2_434 Depth=3
	s_or_b64 exec, exec, s[24:25]
	s_sub_u32 s18, s18, s20
	s_subb_u32 s19, s19, s21
	s_add_u32 s16, s16, s20
	s_addc_u32 s17, s17, s21
	s_cmp_lg_u64 s[18:19], 0
	s_cbranch_scc0 .LBB2_515
.LBB2_434:                              ;   Parent Loop BB2_13 Depth=1
                                        ;     Parent Loop BB2_227 Depth=2
                                        ; =>    This Loop Header: Depth=3
                                        ;         Child Loop BB2_437 Depth 4
                                        ;         Child Loop BB2_444 Depth 4
                                        ;         Child Loop BB2_452 Depth 4
                                        ;         Child Loop BB2_460 Depth 4
                                        ;         Child Loop BB2_468 Depth 4
                                        ;         Child Loop BB2_476 Depth 4
                                        ;         Child Loop BB2_484 Depth 4
                                        ;         Child Loop BB2_492 Depth 4
                                        ;         Child Loop BB2_500 Depth 4
                                        ;         Child Loop BB2_509 Depth 4
                                        ;         Child Loop BB2_514 Depth 4
	v_cmp_lt_u64_e64 s[4:5], s[18:19], 56
	s_and_b64 s[4:5], s[4:5], exec
	v_cmp_gt_u64_e64 s[4:5], s[18:19], 7
	s_cselect_b32 s21, s19, 0
	s_cselect_b32 s20, s18, 56
	s_and_b64 vcc, exec, s[4:5]
	s_cbranch_vccnz .LBB2_439
; %bb.435:                              ;   in Loop: Header=BB2_434 Depth=3
	s_mov_b64 s[4:5], 0
	s_cmp_eq_u64 s[18:19], 0
	s_waitcnt vmcnt(0)
	v_pk_mov_b32 v[8:9], 0, 0
	s_cbranch_scc1 .LBB2_438
; %bb.436:                              ;   in Loop: Header=BB2_434 Depth=3
	s_lshl_b64 s[22:23], s[20:21], 3
	s_mov_b64 s[24:25], 0
	v_pk_mov_b32 v[8:9], 0, 0
	s_mov_b64 s[26:27], s[16:17]
.LBB2_437:                              ;   Parent Loop BB2_13 Depth=1
                                        ;     Parent Loop BB2_227 Depth=2
                                        ;       Parent Loop BB2_434 Depth=3
                                        ; =>      This Inner Loop Header: Depth=4
	global_load_ubyte v2, v47, s[26:27]
	s_waitcnt vmcnt(0)
	v_and_b32_e32 v46, 0xffff, v2
	v_lshlrev_b64 v[2:3], s24, v[46:47]
	s_add_u32 s24, s24, 8
	s_addc_u32 s25, s25, 0
	s_add_u32 s26, s26, 1
	s_addc_u32 s27, s27, 0
	v_or_b32_e32 v8, v2, v8
	s_cmp_lg_u32 s22, s24
	v_or_b32_e32 v9, v3, v9
	s_cbranch_scc1 .LBB2_437
.LBB2_438:                              ;   in Loop: Header=BB2_434 Depth=3
	s_mov_b32 s26, 0
	s_andn2_b64 vcc, exec, s[4:5]
	s_mov_b64 s[4:5], s[16:17]
	s_cbranch_vccz .LBB2_440
	s_branch .LBB2_441
.LBB2_439:                              ;   in Loop: Header=BB2_434 Depth=3
                                        ; implicit-def: $sgpr26
	s_mov_b64 s[4:5], s[16:17]
.LBB2_440:                              ;   in Loop: Header=BB2_434 Depth=3
	global_load_dwordx2 v[8:9], v47, s[16:17]
	s_add_i32 s26, s20, -8
	s_add_u32 s4, s16, 8
	s_addc_u32 s5, s17, 0
.LBB2_441:                              ;   in Loop: Header=BB2_434 Depth=3
	s_cmp_gt_u32 s26, 7
	s_cbranch_scc1 .LBB2_445
; %bb.442:                              ;   in Loop: Header=BB2_434 Depth=3
	s_cmp_eq_u32 s26, 0
	s_cbranch_scc1 .LBB2_446
; %bb.443:                              ;   in Loop: Header=BB2_434 Depth=3
	s_mov_b64 s[22:23], 0
	v_pk_mov_b32 v[10:11], 0, 0
	s_mov_b64 s[24:25], 0
.LBB2_444:                              ;   Parent Loop BB2_13 Depth=1
                                        ;     Parent Loop BB2_227 Depth=2
                                        ;       Parent Loop BB2_434 Depth=3
                                        ; =>      This Inner Loop Header: Depth=4
	s_add_u32 s28, s4, s24
	s_addc_u32 s29, s5, s25
	global_load_ubyte v2, v47, s[28:29]
	s_add_u32 s24, s24, 1
	s_addc_u32 s25, s25, 0
	s_waitcnt vmcnt(0)
	v_and_b32_e32 v46, 0xffff, v2
	v_lshlrev_b64 v[2:3], s22, v[46:47]
	s_add_u32 s22, s22, 8
	s_addc_u32 s23, s23, 0
	v_or_b32_e32 v10, v2, v10
	s_cmp_lg_u32 s26, s24
	v_or_b32_e32 v11, v3, v11
	s_cbranch_scc1 .LBB2_444
	s_branch .LBB2_447
.LBB2_445:                              ;   in Loop: Header=BB2_434 Depth=3
                                        ; implicit-def: $vgpr10_vgpr11
                                        ; implicit-def: $sgpr27
	s_branch .LBB2_448
.LBB2_446:                              ;   in Loop: Header=BB2_434 Depth=3
	v_pk_mov_b32 v[10:11], 0, 0
.LBB2_447:                              ;   in Loop: Header=BB2_434 Depth=3
	s_mov_b32 s27, 0
	s_cbranch_execnz .LBB2_449
.LBB2_448:                              ;   in Loop: Header=BB2_434 Depth=3
	global_load_dwordx2 v[10:11], v47, s[4:5]
	s_add_i32 s27, s26, -8
	s_add_u32 s4, s4, 8
	s_addc_u32 s5, s5, 0
.LBB2_449:                              ;   in Loop: Header=BB2_434 Depth=3
	s_cmp_gt_u32 s27, 7
	s_cbranch_scc1 .LBB2_453
; %bb.450:                              ;   in Loop: Header=BB2_434 Depth=3
	s_cmp_eq_u32 s27, 0
	s_cbranch_scc1 .LBB2_454
; %bb.451:                              ;   in Loop: Header=BB2_434 Depth=3
	s_mov_b64 s[22:23], 0
	v_pk_mov_b32 v[12:13], 0, 0
	s_mov_b64 s[24:25], 0
.LBB2_452:                              ;   Parent Loop BB2_13 Depth=1
                                        ;     Parent Loop BB2_227 Depth=2
                                        ;       Parent Loop BB2_434 Depth=3
                                        ; =>      This Inner Loop Header: Depth=4
	s_add_u32 s28, s4, s24
	s_addc_u32 s29, s5, s25
	global_load_ubyte v2, v47, s[28:29]
	s_add_u32 s24, s24, 1
	s_addc_u32 s25, s25, 0
	s_waitcnt vmcnt(0)
	v_and_b32_e32 v46, 0xffff, v2
	v_lshlrev_b64 v[2:3], s22, v[46:47]
	s_add_u32 s22, s22, 8
	s_addc_u32 s23, s23, 0
	v_or_b32_e32 v12, v2, v12
	s_cmp_lg_u32 s27, s24
	v_or_b32_e32 v13, v3, v13
	s_cbranch_scc1 .LBB2_452
	s_branch .LBB2_455
.LBB2_453:                              ;   in Loop: Header=BB2_434 Depth=3
                                        ; implicit-def: $sgpr26
	s_branch .LBB2_456
.LBB2_454:                              ;   in Loop: Header=BB2_434 Depth=3
	v_pk_mov_b32 v[12:13], 0, 0
.LBB2_455:                              ;   in Loop: Header=BB2_434 Depth=3
	s_mov_b32 s26, 0
	s_cbranch_execnz .LBB2_457
.LBB2_456:                              ;   in Loop: Header=BB2_434 Depth=3
	global_load_dwordx2 v[12:13], v47, s[4:5]
	s_add_i32 s26, s27, -8
	s_add_u32 s4, s4, 8
	s_addc_u32 s5, s5, 0
.LBB2_457:                              ;   in Loop: Header=BB2_434 Depth=3
	s_cmp_gt_u32 s26, 7
	s_cbranch_scc1 .LBB2_461
; %bb.458:                              ;   in Loop: Header=BB2_434 Depth=3
	s_cmp_eq_u32 s26, 0
	s_cbranch_scc1 .LBB2_462
; %bb.459:                              ;   in Loop: Header=BB2_434 Depth=3
	s_mov_b64 s[22:23], 0
	v_pk_mov_b32 v[14:15], 0, 0
	s_mov_b64 s[24:25], 0
.LBB2_460:                              ;   Parent Loop BB2_13 Depth=1
                                        ;     Parent Loop BB2_227 Depth=2
                                        ;       Parent Loop BB2_434 Depth=3
                                        ; =>      This Inner Loop Header: Depth=4
	s_add_u32 s28, s4, s24
	s_addc_u32 s29, s5, s25
	global_load_ubyte v2, v47, s[28:29]
	s_add_u32 s24, s24, 1
	s_addc_u32 s25, s25, 0
	s_waitcnt vmcnt(0)
	v_and_b32_e32 v46, 0xffff, v2
	v_lshlrev_b64 v[2:3], s22, v[46:47]
	s_add_u32 s22, s22, 8
	s_addc_u32 s23, s23, 0
	v_or_b32_e32 v14, v2, v14
	s_cmp_lg_u32 s26, s24
	v_or_b32_e32 v15, v3, v15
	s_cbranch_scc1 .LBB2_460
	s_branch .LBB2_463
.LBB2_461:                              ;   in Loop: Header=BB2_434 Depth=3
                                        ; implicit-def: $vgpr14_vgpr15
                                        ; implicit-def: $sgpr27
	s_branch .LBB2_464
.LBB2_462:                              ;   in Loop: Header=BB2_434 Depth=3
	v_pk_mov_b32 v[14:15], 0, 0
.LBB2_463:                              ;   in Loop: Header=BB2_434 Depth=3
	s_mov_b32 s27, 0
	s_cbranch_execnz .LBB2_465
.LBB2_464:                              ;   in Loop: Header=BB2_434 Depth=3
	global_load_dwordx2 v[14:15], v47, s[4:5]
	s_add_i32 s27, s26, -8
	s_add_u32 s4, s4, 8
	s_addc_u32 s5, s5, 0
.LBB2_465:                              ;   in Loop: Header=BB2_434 Depth=3
	s_cmp_gt_u32 s27, 7
	s_cbranch_scc1 .LBB2_469
; %bb.466:                              ;   in Loop: Header=BB2_434 Depth=3
	s_cmp_eq_u32 s27, 0
	s_cbranch_scc1 .LBB2_470
; %bb.467:                              ;   in Loop: Header=BB2_434 Depth=3
	s_mov_b64 s[22:23], 0
	v_pk_mov_b32 v[16:17], 0, 0
	s_mov_b64 s[24:25], 0
.LBB2_468:                              ;   Parent Loop BB2_13 Depth=1
                                        ;     Parent Loop BB2_227 Depth=2
                                        ;       Parent Loop BB2_434 Depth=3
                                        ; =>      This Inner Loop Header: Depth=4
	s_add_u32 s28, s4, s24
	s_addc_u32 s29, s5, s25
	global_load_ubyte v2, v47, s[28:29]
	s_add_u32 s24, s24, 1
	s_addc_u32 s25, s25, 0
	s_waitcnt vmcnt(0)
	v_and_b32_e32 v46, 0xffff, v2
	v_lshlrev_b64 v[2:3], s22, v[46:47]
	s_add_u32 s22, s22, 8
	s_addc_u32 s23, s23, 0
	v_or_b32_e32 v16, v2, v16
	s_cmp_lg_u32 s27, s24
	v_or_b32_e32 v17, v3, v17
	s_cbranch_scc1 .LBB2_468
	s_branch .LBB2_471
.LBB2_469:                              ;   in Loop: Header=BB2_434 Depth=3
                                        ; implicit-def: $sgpr26
	s_branch .LBB2_472
.LBB2_470:                              ;   in Loop: Header=BB2_434 Depth=3
	v_pk_mov_b32 v[16:17], 0, 0
.LBB2_471:                              ;   in Loop: Header=BB2_434 Depth=3
	s_mov_b32 s26, 0
	s_cbranch_execnz .LBB2_473
.LBB2_472:                              ;   in Loop: Header=BB2_434 Depth=3
	global_load_dwordx2 v[16:17], v47, s[4:5]
	s_add_i32 s26, s27, -8
	s_add_u32 s4, s4, 8
	s_addc_u32 s5, s5, 0
.LBB2_473:                              ;   in Loop: Header=BB2_434 Depth=3
	s_cmp_gt_u32 s26, 7
	s_cbranch_scc1 .LBB2_477
; %bb.474:                              ;   in Loop: Header=BB2_434 Depth=3
	s_cmp_eq_u32 s26, 0
	s_cbranch_scc1 .LBB2_478
; %bb.475:                              ;   in Loop: Header=BB2_434 Depth=3
	s_mov_b64 s[22:23], 0
	v_pk_mov_b32 v[18:19], 0, 0
	s_mov_b64 s[24:25], 0
.LBB2_476:                              ;   Parent Loop BB2_13 Depth=1
                                        ;     Parent Loop BB2_227 Depth=2
                                        ;       Parent Loop BB2_434 Depth=3
                                        ; =>      This Inner Loop Header: Depth=4
	s_add_u32 s28, s4, s24
	s_addc_u32 s29, s5, s25
	global_load_ubyte v2, v47, s[28:29]
	s_add_u32 s24, s24, 1
	s_addc_u32 s25, s25, 0
	s_waitcnt vmcnt(0)
	v_and_b32_e32 v46, 0xffff, v2
	v_lshlrev_b64 v[2:3], s22, v[46:47]
	s_add_u32 s22, s22, 8
	s_addc_u32 s23, s23, 0
	v_or_b32_e32 v18, v2, v18
	s_cmp_lg_u32 s26, s24
	v_or_b32_e32 v19, v3, v19
	s_cbranch_scc1 .LBB2_476
	s_branch .LBB2_479
.LBB2_477:                              ;   in Loop: Header=BB2_434 Depth=3
                                        ; implicit-def: $vgpr18_vgpr19
                                        ; implicit-def: $sgpr27
	s_branch .LBB2_480
.LBB2_478:                              ;   in Loop: Header=BB2_434 Depth=3
	v_pk_mov_b32 v[18:19], 0, 0
.LBB2_479:                              ;   in Loop: Header=BB2_434 Depth=3
	s_mov_b32 s27, 0
	s_cbranch_execnz .LBB2_481
.LBB2_480:                              ;   in Loop: Header=BB2_434 Depth=3
	global_load_dwordx2 v[18:19], v47, s[4:5]
	s_add_i32 s27, s26, -8
	s_add_u32 s4, s4, 8
	s_addc_u32 s5, s5, 0
.LBB2_481:                              ;   in Loop: Header=BB2_434 Depth=3
	s_cmp_gt_u32 s27, 7
	s_cbranch_scc1 .LBB2_485
; %bb.482:                              ;   in Loop: Header=BB2_434 Depth=3
	s_cmp_eq_u32 s27, 0
	s_cbranch_scc1 .LBB2_486
; %bb.483:                              ;   in Loop: Header=BB2_434 Depth=3
	s_mov_b64 s[22:23], 0
	v_pk_mov_b32 v[20:21], 0, 0
	s_mov_b64 s[24:25], s[4:5]
.LBB2_484:                              ;   Parent Loop BB2_13 Depth=1
                                        ;     Parent Loop BB2_227 Depth=2
                                        ;       Parent Loop BB2_434 Depth=3
                                        ; =>      This Inner Loop Header: Depth=4
	global_load_ubyte v2, v47, s[24:25]
	s_add_i32 s27, s27, -1
	s_waitcnt vmcnt(0)
	v_and_b32_e32 v46, 0xffff, v2
	v_lshlrev_b64 v[2:3], s22, v[46:47]
	s_add_u32 s22, s22, 8
	s_addc_u32 s23, s23, 0
	s_add_u32 s24, s24, 1
	s_addc_u32 s25, s25, 0
	v_or_b32_e32 v20, v2, v20
	s_cmp_lg_u32 s27, 0
	v_or_b32_e32 v21, v3, v21
	s_cbranch_scc1 .LBB2_484
	s_branch .LBB2_487
.LBB2_485:                              ;   in Loop: Header=BB2_434 Depth=3
	s_branch .LBB2_488
.LBB2_486:                              ;   in Loop: Header=BB2_434 Depth=3
	v_pk_mov_b32 v[20:21], 0, 0
.LBB2_487:                              ;   in Loop: Header=BB2_434 Depth=3
	s_cbranch_execnz .LBB2_489
.LBB2_488:                              ;   in Loop: Header=BB2_434 Depth=3
	global_load_dwordx2 v[20:21], v47, s[4:5]
.LBB2_489:                              ;   in Loop: Header=BB2_434 Depth=3
	v_readfirstlane_b32 s4, v98
	v_cmp_eq_u32_e64 s[4:5], s4, v98
	v_pk_mov_b32 v[2:3], 0, 0
	s_and_saveexec_b64 s[22:23], s[4:5]
	s_cbranch_execz .LBB2_495
; %bb.490:                              ;   in Loop: Header=BB2_434 Depth=3
	global_load_dwordx2 v[24:25], v47, s[8:9] offset:24 glc
	s_waitcnt vmcnt(0)
	buffer_invl2
	buffer_wbinvl1_vol
	global_load_dwordx2 v[2:3], v47, s[8:9] offset:40
	global_load_dwordx2 v[22:23], v47, s[8:9]
	s_waitcnt vmcnt(1)
	v_and_b32_e32 v2, v2, v24
	v_and_b32_e32 v3, v3, v25
	v_mul_lo_u32 v3, v3, 24
	v_mul_hi_u32 v5, v2, 24
	v_mul_lo_u32 v2, v2, 24
	v_add_u32_e32 v3, v5, v3
	s_waitcnt vmcnt(0)
	v_add_co_u32_e32 v2, vcc, v22, v2
	v_addc_co_u32_e32 v3, vcc, v23, v3, vcc
	global_load_dwordx2 v[22:23], v[2:3], off glc
	s_waitcnt vmcnt(0)
	global_atomic_cmpswap_x2 v[2:3], v47, v[22:25], s[8:9] offset:24 glc
	s_waitcnt vmcnt(0)
	buffer_invl2
	buffer_wbinvl1_vol
	v_cmp_ne_u64_e32 vcc, v[2:3], v[24:25]
	s_and_saveexec_b64 s[24:25], vcc
	s_cbranch_execz .LBB2_494
; %bb.491:                              ;   in Loop: Header=BB2_434 Depth=3
	s_mov_b64 s[26:27], 0
.LBB2_492:                              ;   Parent Loop BB2_13 Depth=1
                                        ;     Parent Loop BB2_227 Depth=2
                                        ;       Parent Loop BB2_434 Depth=3
                                        ; =>      This Inner Loop Header: Depth=4
	s_sleep 1
	global_load_dwordx2 v[22:23], v47, s[8:9] offset:40
	global_load_dwordx2 v[32:33], v47, s[8:9]
	v_pk_mov_b32 v[24:25], v[2:3], v[2:3] op_sel:[0,1]
	s_waitcnt vmcnt(1)
	v_and_b32_e32 v2, v22, v24
	s_waitcnt vmcnt(0)
	v_mad_u64_u32 v[2:3], s[28:29], v2, 24, v[32:33]
	v_and_b32_e32 v5, v23, v25
	v_mov_b32_e32 v22, v3
	v_mad_u64_u32 v[22:23], s[28:29], v5, 24, v[22:23]
	v_mov_b32_e32 v3, v22
	global_load_dwordx2 v[22:23], v[2:3], off glc
	s_waitcnt vmcnt(0)
	global_atomic_cmpswap_x2 v[2:3], v47, v[22:25], s[8:9] offset:24 glc
	s_waitcnt vmcnt(0)
	buffer_invl2
	buffer_wbinvl1_vol
	v_cmp_eq_u64_e32 vcc, v[2:3], v[24:25]
	s_or_b64 s[26:27], vcc, s[26:27]
	s_andn2_b64 exec, exec, s[26:27]
	s_cbranch_execnz .LBB2_492
; %bb.493:                              ;   in Loop: Header=BB2_434 Depth=3
	s_or_b64 exec, exec, s[26:27]
.LBB2_494:                              ;   in Loop: Header=BB2_434 Depth=3
	s_or_b64 exec, exec, s[24:25]
.LBB2_495:                              ;   in Loop: Header=BB2_434 Depth=3
	s_or_b64 exec, exec, s[22:23]
	global_load_dwordx2 v[32:33], v47, s[8:9] offset:40
	global_load_dwordx4 v[22:25], v47, s[8:9]
	v_readfirstlane_b32 s22, v2
	v_readfirstlane_b32 s23, v3
	s_mov_b64 s[24:25], exec
	s_waitcnt vmcnt(1)
	v_readfirstlane_b32 s26, v32
	v_readfirstlane_b32 s27, v33
	s_and_b64 s[26:27], s[22:23], s[26:27]
	s_mul_i32 s28, s27, 24
	s_mul_hi_u32 s29, s26, 24
	s_mul_i32 s30, s26, 24
	s_add_i32 s28, s29, s28
	v_mov_b32_e32 v3, s28
	s_waitcnt vmcnt(0)
	v_add_co_u32_e32 v2, vcc, s30, v22
	v_addc_co_u32_e32 v3, vcc, v23, v3, vcc
	s_and_saveexec_b64 s[28:29], s[4:5]
	s_cbranch_execz .LBB2_497
; %bb.496:                              ;   in Loop: Header=BB2_434 Depth=3
	v_pk_mov_b32 v[56:57], s[24:25], s[24:25] op_sel:[0,1]
	global_store_dwordx4 v[2:3], v[56:59], off offset:8
.LBB2_497:                              ;   in Loop: Header=BB2_434 Depth=3
	s_or_b64 exec, exec, s[28:29]
	s_lshl_b64 s[24:25], s[26:27], 12
	v_mov_b32_e32 v5, s25
	v_add_co_u32_e32 v24, vcc, s24, v24
	v_addc_co_u32_e32 v5, vcc, v25, v5, vcc
	v_or_b32_e32 v25, 2, v6
	v_cmp_gt_u64_e64 vcc, s[18:19], 56
	s_lshl_b32 s24, s20, 2
	v_cndmask_b32_e32 v6, v25, v6, vcc
	s_add_i32 s24, s24, 28
	s_and_b32 s24, s24, 0x1e0
	v_and_b32_e32 v6, 0xffffff1f, v6
	v_or_b32_e32 v6, s24, v6
	v_readfirstlane_b32 s24, v24
	v_readfirstlane_b32 s25, v5
	s_nop 4
	global_store_dwordx4 v31, v[6:9], s[24:25]
	global_store_dwordx4 v31, v[10:13], s[24:25] offset:16
	global_store_dwordx4 v31, v[14:17], s[24:25] offset:32
	;; [unrolled: 1-line block ×3, first 2 shown]
	s_and_saveexec_b64 s[24:25], s[4:5]
	s_cbranch_execz .LBB2_505
; %bb.498:                              ;   in Loop: Header=BB2_434 Depth=3
	global_load_dwordx2 v[14:15], v47, s[8:9] offset:32 glc
	global_load_dwordx2 v[6:7], v47, s[8:9] offset:40
	v_mov_b32_e32 v12, s22
	v_mov_b32_e32 v13, s23
	s_waitcnt vmcnt(0)
	v_readfirstlane_b32 s26, v6
	v_readfirstlane_b32 s27, v7
	s_and_b64 s[26:27], s[26:27], s[22:23]
	s_mul_i32 s27, s27, 24
	s_mul_hi_u32 s28, s26, 24
	s_mul_i32 s26, s26, 24
	s_add_i32 s27, s28, s27
	v_mov_b32_e32 v6, s27
	v_add_co_u32_e32 v10, vcc, s26, v22
	v_addc_co_u32_e32 v11, vcc, v23, v6, vcc
	global_store_dwordx2 v[10:11], v[14:15], off
	buffer_wbl2
	s_waitcnt vmcnt(0)
	global_atomic_cmpswap_x2 v[8:9], v47, v[12:15], s[8:9] offset:32 glc
	s_waitcnt vmcnt(0)
	v_cmp_ne_u64_e32 vcc, v[8:9], v[14:15]
	s_and_saveexec_b64 s[26:27], vcc
	s_cbranch_execz .LBB2_501
; %bb.499:                              ;   in Loop: Header=BB2_434 Depth=3
	s_mov_b64 s[28:29], 0
.LBB2_500:                              ;   Parent Loop BB2_13 Depth=1
                                        ;     Parent Loop BB2_227 Depth=2
                                        ;       Parent Loop BB2_434 Depth=3
                                        ; =>      This Inner Loop Header: Depth=4
	s_sleep 1
	global_store_dwordx2 v[10:11], v[8:9], off
	v_mov_b32_e32 v6, s22
	v_mov_b32_e32 v7, s23
	buffer_wbl2
	s_waitcnt vmcnt(0)
	global_atomic_cmpswap_x2 v[6:7], v47, v[6:9], s[8:9] offset:32 glc
	s_waitcnt vmcnt(0)
	v_cmp_eq_u64_e32 vcc, v[6:7], v[8:9]
	s_or_b64 s[28:29], vcc, s[28:29]
	v_pk_mov_b32 v[8:9], v[6:7], v[6:7] op_sel:[0,1]
	s_andn2_b64 exec, exec, s[28:29]
	s_cbranch_execnz .LBB2_500
.LBB2_501:                              ;   in Loop: Header=BB2_434 Depth=3
	s_or_b64 exec, exec, s[26:27]
	global_load_dwordx2 v[6:7], v47, s[8:9] offset:16
	s_mov_b64 s[28:29], exec
	v_mbcnt_lo_u32_b32 v8, s28, 0
	v_mbcnt_hi_u32_b32 v8, s29, v8
	v_cmp_eq_u32_e32 vcc, 0, v8
	s_and_saveexec_b64 s[26:27], vcc
	s_cbranch_execz .LBB2_503
; %bb.502:                              ;   in Loop: Header=BB2_434 Depth=3
	s_bcnt1_i32_b64 s28, s[28:29]
	v_mov_b32_e32 v46, s28
	buffer_wbl2
	s_waitcnt vmcnt(0)
	global_atomic_add_x2 v[6:7], v[46:47], off offset:8
.LBB2_503:                              ;   in Loop: Header=BB2_434 Depth=3
	s_or_b64 exec, exec, s[26:27]
	s_waitcnt vmcnt(0)
	global_load_dwordx2 v[8:9], v[6:7], off offset:16
	s_waitcnt vmcnt(0)
	v_cmp_eq_u64_e32 vcc, 0, v[8:9]
	s_cbranch_vccnz .LBB2_505
; %bb.504:                              ;   in Loop: Header=BB2_434 Depth=3
	global_load_dword v46, v[6:7], off offset:24
	s_waitcnt vmcnt(0)
	v_and_b32_e32 v6, 0xffffff, v46
	v_readfirstlane_b32 m0, v6
	buffer_wbl2
	global_store_dwordx2 v[8:9], v[46:47], off
	s_sendmsg sendmsg(MSG_INTERRUPT)
.LBB2_505:                              ;   in Loop: Header=BB2_434 Depth=3
	s_or_b64 exec, exec, s[24:25]
	v_add_co_u32_e32 v6, vcc, v24, v31
	v_addc_co_u32_e32 v7, vcc, 0, v5, vcc
	s_branch .LBB2_509
.LBB2_506:                              ;   in Loop: Header=BB2_509 Depth=4
	s_or_b64 exec, exec, s[24:25]
	v_readfirstlane_b32 s24, v5
	s_cmp_eq_u32 s24, 0
	s_cbranch_scc1 .LBB2_508
; %bb.507:                              ;   in Loop: Header=BB2_509 Depth=4
	s_sleep 1
	s_cbranch_execnz .LBB2_509
	s_branch .LBB2_511
.LBB2_508:                              ;   in Loop: Header=BB2_434 Depth=3
	s_branch .LBB2_511
.LBB2_509:                              ;   Parent Loop BB2_13 Depth=1
                                        ;     Parent Loop BB2_227 Depth=2
                                        ;       Parent Loop BB2_434 Depth=3
                                        ; =>      This Inner Loop Header: Depth=4
	v_mov_b32_e32 v5, 1
	s_and_saveexec_b64 s[24:25], s[4:5]
	s_cbranch_execz .LBB2_506
; %bb.510:                              ;   in Loop: Header=BB2_509 Depth=4
	global_load_dword v5, v[2:3], off offset:20 glc
	s_waitcnt vmcnt(0)
	buffer_invl2
	buffer_wbinvl1_vol
	v_and_b32_e32 v5, 1, v5
	s_branch .LBB2_506
.LBB2_511:                              ;   in Loop: Header=BB2_434 Depth=3
	global_load_dwordx4 v[6:9], v[6:7], off
	s_and_saveexec_b64 s[24:25], s[4:5]
	s_cbranch_execz .LBB2_433
; %bb.512:                              ;   in Loop: Header=BB2_434 Depth=3
	global_load_dwordx2 v[2:3], v47, s[8:9] offset:40
	global_load_dwordx2 v[12:13], v47, s[8:9] offset:24 glc
	global_load_dwordx2 v[14:15], v47, s[8:9]
	v_mov_b32_e32 v5, s23
	s_waitcnt vmcnt(2)
	v_add_co_u32_e32 v11, vcc, 1, v2
	v_addc_co_u32_e32 v16, vcc, 0, v3, vcc
	v_add_co_u32_e32 v8, vcc, s22, v11
	v_addc_co_u32_e32 v9, vcc, v16, v5, vcc
	v_cmp_eq_u64_e32 vcc, 0, v[8:9]
	v_cndmask_b32_e32 v9, v9, v16, vcc
	v_cndmask_b32_e32 v8, v8, v11, vcc
	v_and_b32_e32 v3, v9, v3
	v_and_b32_e32 v2, v8, v2
	v_mul_lo_u32 v3, v3, 24
	v_mul_hi_u32 v5, v2, 24
	v_mul_lo_u32 v2, v2, 24
	v_add_u32_e32 v3, v5, v3
	s_waitcnt vmcnt(0)
	v_add_co_u32_e32 v2, vcc, v14, v2
	v_addc_co_u32_e32 v3, vcc, v15, v3, vcc
	v_mov_b32_e32 v10, v12
	global_store_dwordx2 v[2:3], v[12:13], off
	v_mov_b32_e32 v11, v13
	buffer_wbl2
	s_waitcnt vmcnt(0)
	global_atomic_cmpswap_x2 v[10:11], v47, v[8:11], s[8:9] offset:24 glc
	s_waitcnt vmcnt(0)
	v_cmp_ne_u64_e32 vcc, v[10:11], v[12:13]
	s_and_b64 exec, exec, vcc
	s_cbranch_execz .LBB2_433
; %bb.513:                              ;   in Loop: Header=BB2_434 Depth=3
	s_mov_b64 s[4:5], 0
.LBB2_514:                              ;   Parent Loop BB2_13 Depth=1
                                        ;     Parent Loop BB2_227 Depth=2
                                        ;       Parent Loop BB2_434 Depth=3
                                        ; =>      This Inner Loop Header: Depth=4
	s_sleep 1
	global_store_dwordx2 v[2:3], v[10:11], off
	buffer_wbl2
	s_waitcnt vmcnt(0)
	global_atomic_cmpswap_x2 v[12:13], v47, v[8:11], s[8:9] offset:24 glc
	s_waitcnt vmcnt(0)
	v_cmp_eq_u64_e32 vcc, v[12:13], v[10:11]
	s_or_b64 s[4:5], vcc, s[4:5]
	v_pk_mov_b32 v[10:11], v[12:13], v[12:13] op_sel:[0,1]
	s_andn2_b64 exec, exec, s[4:5]
	s_cbranch_execnz .LBB2_514
	s_branch .LBB2_433
.LBB2_515:                              ;   in Loop: Header=BB2_227 Depth=2
	s_branch .LBB2_543
.LBB2_516:                              ;   in Loop: Header=BB2_227 Depth=2
	s_cbranch_execz .LBB2_543
; %bb.517:                              ;   in Loop: Header=BB2_227 Depth=2
	v_readfirstlane_b32 s4, v98
	v_cmp_eq_u32_e64 s[4:5], s4, v98
	v_pk_mov_b32 v[2:3], 0, 0
	s_and_saveexec_b64 s[16:17], s[4:5]
	s_cbranch_execz .LBB2_523
; %bb.518:                              ;   in Loop: Header=BB2_227 Depth=2
	global_load_dwordx2 v[8:9], v47, s[8:9] offset:24 glc
	s_waitcnt vmcnt(0)
	buffer_invl2
	buffer_wbinvl1_vol
	global_load_dwordx2 v[2:3], v47, s[8:9] offset:40
	global_load_dwordx2 v[6:7], v47, s[8:9]
	s_waitcnt vmcnt(1)
	v_and_b32_e32 v2, v2, v8
	v_and_b32_e32 v3, v3, v9
	v_mul_lo_u32 v3, v3, 24
	v_mul_hi_u32 v5, v2, 24
	v_mul_lo_u32 v2, v2, 24
	v_add_u32_e32 v3, v5, v3
	s_waitcnt vmcnt(0)
	v_add_co_u32_e32 v2, vcc, v6, v2
	v_addc_co_u32_e32 v3, vcc, v7, v3, vcc
	global_load_dwordx2 v[6:7], v[2:3], off glc
	s_waitcnt vmcnt(0)
	global_atomic_cmpswap_x2 v[2:3], v47, v[6:9], s[8:9] offset:24 glc
	s_waitcnt vmcnt(0)
	buffer_invl2
	buffer_wbinvl1_vol
	v_cmp_ne_u64_e32 vcc, v[2:3], v[8:9]
	s_and_saveexec_b64 s[18:19], vcc
	s_cbranch_execz .LBB2_522
; %bb.519:                              ;   in Loop: Header=BB2_227 Depth=2
	s_mov_b64 s[20:21], 0
.LBB2_520:                              ;   Parent Loop BB2_13 Depth=1
                                        ;     Parent Loop BB2_227 Depth=2
                                        ; =>    This Inner Loop Header: Depth=3
	s_sleep 1
	global_load_dwordx2 v[6:7], v47, s[8:9] offset:40
	global_load_dwordx2 v[10:11], v47, s[8:9]
	v_pk_mov_b32 v[8:9], v[2:3], v[2:3] op_sel:[0,1]
	s_waitcnt vmcnt(1)
	v_and_b32_e32 v2, v6, v8
	s_waitcnt vmcnt(0)
	v_mad_u64_u32 v[2:3], s[22:23], v2, 24, v[10:11]
	v_and_b32_e32 v5, v7, v9
	v_mov_b32_e32 v6, v3
	v_mad_u64_u32 v[6:7], s[22:23], v5, 24, v[6:7]
	v_mov_b32_e32 v3, v6
	global_load_dwordx2 v[6:7], v[2:3], off glc
	s_waitcnt vmcnt(0)
	global_atomic_cmpswap_x2 v[2:3], v47, v[6:9], s[8:9] offset:24 glc
	s_waitcnt vmcnt(0)
	buffer_invl2
	buffer_wbinvl1_vol
	v_cmp_eq_u64_e32 vcc, v[2:3], v[8:9]
	s_or_b64 s[20:21], vcc, s[20:21]
	s_andn2_b64 exec, exec, s[20:21]
	s_cbranch_execnz .LBB2_520
; %bb.521:                              ;   in Loop: Header=BB2_227 Depth=2
	s_or_b64 exec, exec, s[20:21]
.LBB2_522:                              ;   in Loop: Header=BB2_227 Depth=2
	s_or_b64 exec, exec, s[18:19]
.LBB2_523:                              ;   in Loop: Header=BB2_227 Depth=2
	s_or_b64 exec, exec, s[16:17]
	global_load_dwordx2 v[10:11], v47, s[8:9] offset:40
	global_load_dwordx4 v[6:9], v47, s[8:9]
	v_readfirstlane_b32 s16, v2
	v_readfirstlane_b32 s17, v3
	s_mov_b64 s[18:19], exec
	s_waitcnt vmcnt(1)
	v_readfirstlane_b32 s20, v10
	v_readfirstlane_b32 s21, v11
	s_and_b64 s[20:21], s[16:17], s[20:21]
	s_mul_i32 s22, s21, 24
	s_mul_hi_u32 s23, s20, 24
	s_mul_i32 s24, s20, 24
	s_add_i32 s22, s23, s22
	v_mov_b32_e32 v2, s22
	s_waitcnt vmcnt(0)
	v_add_co_u32_e32 v10, vcc, s24, v6
	v_addc_co_u32_e32 v11, vcc, v7, v2, vcc
	s_and_saveexec_b64 s[22:23], s[4:5]
	s_cbranch_execz .LBB2_525
; %bb.524:                              ;   in Loop: Header=BB2_227 Depth=2
	v_pk_mov_b32 v[56:57], s[18:19], s[18:19] op_sel:[0,1]
	global_store_dwordx4 v[10:11], v[56:59], off offset:8
.LBB2_525:                              ;   in Loop: Header=BB2_227 Depth=2
	s_or_b64 exec, exec, s[22:23]
	s_lshl_b64 s[18:19], s[20:21], 12
	v_mov_b32_e32 v2, s19
	v_add_co_u32_e32 v8, vcc, s18, v8
	v_addc_co_u32_e32 v5, vcc, v9, v2, vcc
	v_and_or_b32 v0, v0, s37, 34
	v_mov_b32_e32 v2, v47
	v_mov_b32_e32 v3, v47
	v_readfirstlane_b32 s18, v8
	v_readfirstlane_b32 s19, v5
	s_mov_b32 s61, s60
	s_mov_b32 s62, s60
	s_mov_b32 s63, s60
	s_nop 1
	global_store_dwordx4 v31, v[0:3], s[18:19]
	s_nop 0
	v_pk_mov_b32 v[0:1], s[60:61], s[60:61] op_sel:[0,1]
	v_pk_mov_b32 v[2:3], s[62:63], s[62:63] op_sel:[0,1]
	global_store_dwordx4 v31, v[0:3], s[18:19] offset:16
	global_store_dwordx4 v31, v[0:3], s[18:19] offset:32
	;; [unrolled: 1-line block ×3, first 2 shown]
	s_and_saveexec_b64 s[18:19], s[4:5]
	s_cbranch_execz .LBB2_533
; %bb.526:                              ;   in Loop: Header=BB2_227 Depth=2
	global_load_dwordx2 v[14:15], v47, s[8:9] offset:32 glc
	global_load_dwordx2 v[0:1], v47, s[8:9] offset:40
	v_mov_b32_e32 v12, s16
	v_mov_b32_e32 v13, s17
	s_waitcnt vmcnt(0)
	v_readfirstlane_b32 s20, v0
	v_readfirstlane_b32 s21, v1
	s_and_b64 s[20:21], s[20:21], s[16:17]
	s_mul_i32 s21, s21, 24
	s_mul_hi_u32 s22, s20, 24
	s_mul_i32 s20, s20, 24
	s_add_i32 s21, s22, s21
	v_mov_b32_e32 v0, s21
	v_add_co_u32_e32 v6, vcc, s20, v6
	v_addc_co_u32_e32 v7, vcc, v7, v0, vcc
	global_store_dwordx2 v[6:7], v[14:15], off
	buffer_wbl2
	s_waitcnt vmcnt(0)
	global_atomic_cmpswap_x2 v[2:3], v47, v[12:15], s[8:9] offset:32 glc
	s_waitcnt vmcnt(0)
	v_cmp_ne_u64_e32 vcc, v[2:3], v[14:15]
	s_and_saveexec_b64 s[20:21], vcc
	s_cbranch_execz .LBB2_529
; %bb.527:                              ;   in Loop: Header=BB2_227 Depth=2
	s_mov_b64 s[22:23], 0
.LBB2_528:                              ;   Parent Loop BB2_13 Depth=1
                                        ;     Parent Loop BB2_227 Depth=2
                                        ; =>    This Inner Loop Header: Depth=3
	s_sleep 1
	global_store_dwordx2 v[6:7], v[2:3], off
	v_mov_b32_e32 v0, s16
	v_mov_b32_e32 v1, s17
	buffer_wbl2
	s_waitcnt vmcnt(0)
	global_atomic_cmpswap_x2 v[0:1], v47, v[0:3], s[8:9] offset:32 glc
	s_waitcnt vmcnt(0)
	v_cmp_eq_u64_e32 vcc, v[0:1], v[2:3]
	s_or_b64 s[22:23], vcc, s[22:23]
	v_pk_mov_b32 v[2:3], v[0:1], v[0:1] op_sel:[0,1]
	s_andn2_b64 exec, exec, s[22:23]
	s_cbranch_execnz .LBB2_528
.LBB2_529:                              ;   in Loop: Header=BB2_227 Depth=2
	s_or_b64 exec, exec, s[20:21]
	global_load_dwordx2 v[0:1], v47, s[8:9] offset:16
	s_mov_b64 s[22:23], exec
	v_mbcnt_lo_u32_b32 v2, s22, 0
	v_mbcnt_hi_u32_b32 v2, s23, v2
	v_cmp_eq_u32_e32 vcc, 0, v2
	s_and_saveexec_b64 s[20:21], vcc
	s_cbranch_execz .LBB2_531
; %bb.530:                              ;   in Loop: Header=BB2_227 Depth=2
	s_bcnt1_i32_b64 s22, s[22:23]
	v_mov_b32_e32 v46, s22
	buffer_wbl2
	s_waitcnt vmcnt(0)
	global_atomic_add_x2 v[0:1], v[46:47], off offset:8
.LBB2_531:                              ;   in Loop: Header=BB2_227 Depth=2
	s_or_b64 exec, exec, s[20:21]
	s_waitcnt vmcnt(0)
	global_load_dwordx2 v[2:3], v[0:1], off offset:16
	s_waitcnt vmcnt(0)
	v_cmp_eq_u64_e32 vcc, 0, v[2:3]
	s_cbranch_vccnz .LBB2_533
; %bb.532:                              ;   in Loop: Header=BB2_227 Depth=2
	global_load_dword v46, v[0:1], off offset:24
	s_waitcnt vmcnt(0)
	v_and_b32_e32 v0, 0xffffff, v46
	v_readfirstlane_b32 m0, v0
	buffer_wbl2
	global_store_dwordx2 v[2:3], v[46:47], off
	s_sendmsg sendmsg(MSG_INTERRUPT)
.LBB2_533:                              ;   in Loop: Header=BB2_227 Depth=2
	s_or_b64 exec, exec, s[18:19]
	s_branch .LBB2_537
.LBB2_534:                              ;   in Loop: Header=BB2_537 Depth=3
	s_or_b64 exec, exec, s[18:19]
	v_readfirstlane_b32 s18, v0
	s_cmp_eq_u32 s18, 0
	s_cbranch_scc1 .LBB2_536
; %bb.535:                              ;   in Loop: Header=BB2_537 Depth=3
	s_sleep 1
	s_cbranch_execnz .LBB2_537
	s_branch .LBB2_539
.LBB2_536:                              ;   in Loop: Header=BB2_227 Depth=2
	s_branch .LBB2_539
.LBB2_537:                              ;   Parent Loop BB2_13 Depth=1
                                        ;     Parent Loop BB2_227 Depth=2
                                        ; =>    This Inner Loop Header: Depth=3
	v_mov_b32_e32 v0, 1
	s_and_saveexec_b64 s[18:19], s[4:5]
	s_cbranch_execz .LBB2_534
; %bb.538:                              ;   in Loop: Header=BB2_537 Depth=3
	global_load_dword v0, v[10:11], off offset:20 glc
	s_waitcnt vmcnt(0)
	buffer_invl2
	buffer_wbinvl1_vol
	v_and_b32_e32 v0, 1, v0
	s_branch .LBB2_534
.LBB2_539:                              ;   in Loop: Header=BB2_227 Depth=2
	s_and_b64 exec, exec, s[4:5]
	s_cbranch_execz .LBB2_543
; %bb.540:                              ;   in Loop: Header=BB2_227 Depth=2
	global_load_dwordx2 v[6:7], v47, s[8:9] offset:40
	global_load_dwordx2 v[8:9], v47, s[8:9] offset:24 glc
	global_load_dwordx2 v[10:11], v47, s[8:9]
	v_mov_b32_e32 v1, s17
	s_waitcnt vmcnt(2)
	v_add_co_u32_e32 v3, vcc, 1, v6
	v_addc_co_u32_e32 v5, vcc, 0, v7, vcc
	v_add_co_u32_e32 v0, vcc, s16, v3
	v_addc_co_u32_e32 v1, vcc, v5, v1, vcc
	v_cmp_eq_u64_e32 vcc, 0, v[0:1]
	v_cndmask_b32_e32 v1, v1, v5, vcc
	v_cndmask_b32_e32 v0, v0, v3, vcc
	v_and_b32_e32 v3, v1, v7
	v_and_b32_e32 v5, v0, v6
	v_mul_lo_u32 v3, v3, 24
	v_mul_hi_u32 v6, v5, 24
	v_mul_lo_u32 v5, v5, 24
	v_add_u32_e32 v3, v6, v3
	s_waitcnt vmcnt(0)
	v_add_co_u32_e32 v6, vcc, v10, v5
	v_addc_co_u32_e32 v7, vcc, v11, v3, vcc
	v_mov_b32_e32 v2, v8
	global_store_dwordx2 v[6:7], v[8:9], off
	v_mov_b32_e32 v3, v9
	buffer_wbl2
	s_waitcnt vmcnt(0)
	global_atomic_cmpswap_x2 v[2:3], v47, v[0:3], s[8:9] offset:24 glc
	s_waitcnt vmcnt(0)
	v_cmp_ne_u64_e32 vcc, v[2:3], v[8:9]
	s_and_b64 exec, exec, vcc
	s_cbranch_execz .LBB2_543
; %bb.541:                              ;   in Loop: Header=BB2_227 Depth=2
	s_mov_b64 s[4:5], 0
.LBB2_542:                              ;   Parent Loop BB2_13 Depth=1
                                        ;     Parent Loop BB2_227 Depth=2
                                        ; =>    This Inner Loop Header: Depth=3
	s_sleep 1
	global_store_dwordx2 v[6:7], v[2:3], off
	buffer_wbl2
	s_waitcnt vmcnt(0)
	global_atomic_cmpswap_x2 v[8:9], v47, v[0:3], s[8:9] offset:24 glc
	s_waitcnt vmcnt(0)
	v_cmp_eq_u64_e32 vcc, v[8:9], v[2:3]
	s_or_b64 s[4:5], vcc, s[4:5]
	v_pk_mov_b32 v[2:3], v[8:9], v[8:9] op_sel:[0,1]
	s_andn2_b64 exec, exec, s[4:5]
	s_cbranch_execnz .LBB2_542
.LBB2_543:                              ;   in Loop: Header=BB2_227 Depth=2
	s_or_b64 exec, exec, s[6:7]
	buffer_load_ubyte v0, off, s[0:3], 0
	v_mov_b32_e32 v2, 0x58
	v_cmp_lt_i32_e32 vcc, 0, v30
	global_store_byte v[26:27], v2, off offset:48
	global_store_dword v[26:27], v47, off offset:52
	s_and_saveexec_b64 s[16:17], vcc
	s_cbranch_execz .LBB2_549
; %bb.544:                              ;   in Loop: Header=BB2_227 Depth=2
	v_cmp_lt_u32_e32 vcc, 3, v30
	s_mov_b64 s[4:5], 0
                                        ; implicit-def: $vgpr2
                                        ; implicit-def: $vgpr1
	s_and_saveexec_b64 s[6:7], vcc
	s_xor_b64 s[18:19], exec, s[6:7]
	s_cbranch_execnz .LBB2_557
; %bb.545:                              ;   in Loop: Header=BB2_227 Depth=2
	s_andn2_saveexec_b64 s[6:7], s[18:19]
	s_cbranch_execnz .LBB2_576
.LBB2_546:                              ;   in Loop: Header=BB2_227 Depth=2
	s_or_b64 exec, exec, s[6:7]
	s_and_saveexec_b64 s[6:7], s[4:5]
	s_cbranch_execz .LBB2_548
.LBB2_547:                              ;   in Loop: Header=BB2_227 Depth=2
	s_waitcnt vmcnt(0)
	v_mov_b32_e32 v2, v1
	global_store_byte v[26:27], v1, off offset:48
.LBB2_548:                              ;   in Loop: Header=BB2_227 Depth=2
	s_or_b64 exec, exec, s[6:7]
.LBB2_549:                              ;   in Loop: Header=BB2_227 Depth=2
	s_or_b64 exec, exec, s[16:17]
	s_waitcnt vmcnt(0)
	v_cmp_eq_u16_sdwa s[4:5], v0, v2 src0_sel:BYTE_0 src1_sel:BYTE_0
	v_cmp_ne_u16_sdwa s[8:9], v0, v2 src0_sel:BYTE_0 src1_sel:BYTE_0
	v_mov_b32_e32 v0, 0
	s_and_saveexec_b64 s[6:7], s[8:9]
	s_cbranch_execz .LBB2_555
; %bb.550:                              ;   in Loop: Header=BB2_227 Depth=2
	buffer_load_ubyte v0, off, s[0:3], 0 offset:16
	s_waitcnt vmcnt(0)
	v_cmp_eq_u16_sdwa s[8:9], v0, v2 src0_sel:DWORD src1_sel:BYTE_0
	v_cmp_ne_u16_sdwa s[18:19], v0, v2 src0_sel:DWORD src1_sel:BYTE_0
	v_mov_b32_e32 v0, v91
	s_and_saveexec_b64 s[16:17], s[18:19]
	s_cbranch_execz .LBB2_554
; %bb.551:                              ;   in Loop: Header=BB2_227 Depth=2
	buffer_load_ubyte v0, off, s[0:3], 0 offset:32
	s_waitcnt vmcnt(0)
	v_cmp_eq_u16_sdwa s[18:19], v0, v2 src0_sel:DWORD src1_sel:BYTE_0
	v_cmp_ne_u16_sdwa s[22:23], v0, v2 src0_sel:DWORD src1_sel:BYTE_0
	v_mov_b32_e32 v0, v92
	s_and_saveexec_b64 s[20:21], s[22:23]
	s_cbranch_execz .LBB2_553
; %bb.552:                              ;   in Loop: Header=BB2_227 Depth=2
	buffer_load_ubyte v0, off, s[0:3], 0 offset:48
	s_andn2_b64 s[18:19], s[18:19], exec
	s_waitcnt vmcnt(0)
	v_cmp_eq_u16_sdwa s[22:23], v0, v2 src0_sel:DWORD src1_sel:BYTE_0
	s_and_b64 s[22:23], s[22:23], exec
	s_or_b64 s[18:19], s[18:19], s[22:23]
	v_mov_b32_e32 v0, v93
.LBB2_553:                              ;   in Loop: Header=BB2_227 Depth=2
	s_or_b64 exec, exec, s[20:21]
	s_andn2_b64 s[8:9], s[8:9], exec
	s_and_b64 s[18:19], s[18:19], exec
	s_or_b64 s[8:9], s[8:9], s[18:19]
.LBB2_554:                              ;   in Loop: Header=BB2_227 Depth=2
	s_or_b64 exec, exec, s[16:17]
	s_andn2_b64 s[4:5], s[4:5], exec
	s_and_b64 s[8:9], s[8:9], exec
	s_or_b64 s[4:5], s[4:5], s[8:9]
.LBB2_555:                              ;   in Loop: Header=BB2_227 Depth=2
	s_or_b64 exec, exec, s[6:7]
	s_and_b64 exec, exec, s[4:5]
	s_cbranch_execz .LBB2_226
; %bb.556:                              ;   in Loop: Header=BB2_227 Depth=2
	buffer_load_dword v0, v0, s[0:3], 0 offen offset:8
	s_waitcnt vmcnt(0)
	global_store_dword v[26:27], v0, off offset:52
	s_branch .LBB2_226
.LBB2_557:                              ;   in Loop: Header=BB2_227 Depth=2
	v_cmp_lt_u32_e32 vcc, 5, v30
                                        ; implicit-def: $vgpr2
                                        ; implicit-def: $vgpr1
	s_and_saveexec_b64 s[6:7], vcc
	s_xor_b64 s[20:21], exec, s[6:7]
	s_cbranch_execz .LBB2_573
; %bb.558:                              ;   in Loop: Header=BB2_227 Depth=2
	v_cmp_ne_u32_e32 vcc, 6, v30
                                        ; implicit-def: $sgpr36
                                        ; implicit-def: $vgpr1
	s_and_saveexec_b64 s[6:7], vcc
	s_xor_b64 s[22:23], exec, s[6:7]
	s_cbranch_execz .LBB2_570
; %bb.559:                              ;   in Loop: Header=BB2_227 Depth=2
	v_cmp_gt_i32_e32 vcc, 7, v29
	v_cmp_lt_i32_e64 s[4:5], 6, v29
	s_waitcnt vmcnt(0)
	v_mov_b32_e32 v1, v0
                                        ; implicit-def: $sgpr36
	s_and_saveexec_b64 s[24:25], s[4:5]
	s_cbranch_execz .LBB2_569
; %bb.560:                              ;   in Loop: Header=BB2_227 Depth=2
	buffer_load_dword v1, off, s[0:3], 0 offset:44
                                        ; implicit-def: $sgpr36
	s_waitcnt vmcnt(0)
	v_cmp_eq_u32_e64 s[4:5], 7, v1
	v_cmp_ne_u32_e64 s[6:7], 7, v1
	v_mov_b32_e32 v1, 0x46
	s_and_saveexec_b64 s[26:27], s[6:7]
	s_cbranch_execz .LBB2_568
; %bb.561:                              ;   in Loop: Header=BB2_227 Depth=2
	buffer_load_dword v2, off, s[0:3], 0 offset:8
	buffer_load_dword v3, off, s[0:3], 0 offset:24
	v_mov_b32_e32 v1, 0x46
                                        ; implicit-def: $sgpr36
	s_waitcnt vmcnt(0)
	v_cmp_eq_u32_e64 s[6:7], v2, v3
	v_cmp_ne_u32_e64 s[8:9], v2, v3
	s_and_saveexec_b64 s[28:29], s[8:9]
	s_cbranch_execz .LBB2_567
; %bb.562:                              ;   in Loop: Header=BB2_227 Depth=2
	v_cmp_le_u32_e64 s[8:9], v2, v3
	s_mov_b64 s[34:35], -1
	v_mov_b32_e32 v1, v0
                                        ; implicit-def: $sgpr36
	s_and_saveexec_b64 s[30:31], s[8:9]
	s_cbranch_execz .LBB2_566
; %bb.563:                              ;   in Loop: Header=BB2_227 Depth=2
	v_cmp_gt_u32_e64 s[8:9], v3, v2
	s_mov_b64 s[34:35], 0
	v_mov_b32_e32 v1, v0
	s_and_saveexec_b64 s[62:63], s[8:9]
	s_xor_b64 s[8:9], exec, s[62:63]
	s_cbranch_execz .LBB2_565
; %bb.564:                              ;   in Loop: Header=BB2_227 Depth=2
	buffer_load_ubyte v1, off, s[0:3], 0 offset:16
	s_mov_b64 s[34:35], exec
.LBB2_565:                              ;   in Loop: Header=BB2_227 Depth=2
	s_or_b64 exec, exec, s[8:9]
	s_movk_i32 s36, 0x58
	s_orn2_b64 s[34:35], s[34:35], exec
.LBB2_566:                              ;   in Loop: Header=BB2_227 Depth=2
	s_or_b64 exec, exec, s[30:31]
	s_andn2_b64 s[6:7], s[6:7], exec
	s_and_b64 s[8:9], s[34:35], exec
	s_or_b64 s[6:7], s[6:7], s[8:9]
.LBB2_567:                              ;   in Loop: Header=BB2_227 Depth=2
	s_or_b64 exec, exec, s[28:29]
	s_andn2_b64 s[4:5], s[4:5], exec
	s_and_b64 s[6:7], s[6:7], exec
	s_or_b64 s[4:5], s[4:5], s[6:7]
.LBB2_568:                              ;   in Loop: Header=BB2_227 Depth=2
	s_or_b64 exec, exec, s[26:27]
	s_andn2_b64 s[6:7], vcc, exec
	s_and_b64 s[4:5], s[4:5], exec
	s_or_b64 vcc, s[6:7], s[4:5]
.LBB2_569:                              ;   in Loop: Header=BB2_227 Depth=2
	s_or_b64 exec, exec, s[24:25]
	s_and_b64 s[4:5], vcc, exec
                                        ; implicit-def: $vgpr29
.LBB2_570:                              ;   in Loop: Header=BB2_227 Depth=2
	s_or_saveexec_b64 s[6:7], s[22:23]
	v_mov_b32_e32 v2, s36
	s_xor_b64 exec, exec, s[6:7]
	s_cbranch_execz .LBB2_572
; %bb.571:                              ;   in Loop: Header=BB2_227 Depth=2
	v_cmp_gt_i32_e32 vcc, 4, v29
	s_andn2_b64 s[4:5], s[4:5], exec
	s_and_b64 s[8:9], vcc, exec
	v_mov_b32_e32 v2, 0x58
	s_or_b64 s[4:5], s[4:5], s[8:9]
	s_waitcnt vmcnt(0)
	v_mov_b32_e32 v1, v0
.LBB2_572:                              ;   in Loop: Header=BB2_227 Depth=2
	s_or_b64 exec, exec, s[6:7]
	s_and_b64 s[4:5], s[4:5], exec
                                        ; implicit-def: $vgpr29
.LBB2_573:                              ;   in Loop: Header=BB2_227 Depth=2
	s_andn2_saveexec_b64 s[6:7], s[20:21]
	s_cbranch_execz .LBB2_575
; %bb.574:                              ;   in Loop: Header=BB2_227 Depth=2
	v_cmp_gt_i32_e32 vcc, 3, v29
	s_andn2_b64 s[4:5], s[4:5], exec
	s_and_b64 s[8:9], vcc, exec
	v_mov_b32_e32 v2, 0x58
	s_or_b64 s[4:5], s[4:5], s[8:9]
	s_waitcnt vmcnt(0)
	v_mov_b32_e32 v1, v0
.LBB2_575:                              ;   in Loop: Header=BB2_227 Depth=2
	s_or_b64 exec, exec, s[6:7]
	s_and_b64 s[4:5], s[4:5], exec
                                        ; implicit-def: $vgpr29
	s_andn2_saveexec_b64 s[6:7], s[18:19]
	s_cbranch_execz .LBB2_546
.LBB2_576:                              ;   in Loop: Header=BB2_227 Depth=2
	v_cmp_eq_u32_e32 vcc, 0, v29
	s_andn2_b64 s[4:5], s[4:5], exec
	s_and_b64 s[8:9], vcc, exec
	v_mov_b32_e32 v2, 0x58
	s_or_b64 s[4:5], s[4:5], s[8:9]
	s_waitcnt vmcnt(0)
	v_mov_b32_e32 v1, v0
	s_or_b64 exec, exec, s[6:7]
	s_and_saveexec_b64 s[6:7], s[4:5]
	s_cbranch_execnz .LBB2_547
	s_branch .LBB2_548
.LBB2_577:                              ;   in Loop: Header=BB2_13 Depth=1
	s_or_b64 exec, exec, s[10:11]
	s_and_saveexec_b64 s[4:5], s[46:47]
	s_cbranch_execz .LBB2_580
; %bb.578:                              ;   in Loop: Header=BB2_13 Depth=1
	s_mov_b64 s[6:7], 0
	v_mov_b32_e32 v46, v83
	v_pk_mov_b32 v[0:1], v[72:73], v[72:73] op_sel:[0,1]
.LBB2_579:                              ;   Parent Loop BB2_13 Depth=1
                                        ; =>  This Inner Loop Header: Depth=2
	v_mad_u64_u32 v[2:3], s[8:9], v0, 24, v[66:67]
	v_mov_b32_e32 v0, v3
	v_cmp_le_u64_e32 vcc, s[66:67], v[46:47]
	v_mad_u64_u32 v[6:7], s[8:9], v1, 24, v[0:1]
	s_or_b64 s[6:7], vcc, s[6:7]
	v_pk_mov_b32 v[0:1], v[46:47], v[46:47] op_sel:[0,1]
	v_add_u32_e32 v46, 64, v46
	v_mov_b32_e32 v3, v6
	global_store_dword v[2:3], v96, off offset:8
	s_andn2_b64 exec, exec, s[6:7]
	s_cbranch_execnz .LBB2_579
.LBB2_580:                              ;   in Loop: Header=BB2_13 Depth=1
	s_or_b64 exec, exec, s[4:5]
	s_mov_b64 s[6:7], -1
	s_mov_b64 s[4:5], -1
	s_and_saveexec_b64 s[8:9], s[48:49]
	s_cbranch_execz .LBB2_723
; %bb.581:                              ;   in Loop: Header=BB2_13 Depth=1
	v_sub_u32_e32 v0, v85, v4
	v_ashrrev_i32_e32 v1, 31, v0
	v_add_co_u32_e32 v0, vcc, v64, v0
	v_addc_co_u32_e32 v1, vcc, v65, v1, vcc
	v_max_i32_e32 v2, 1, v4
	s_mov_b64 s[4:5], 0
	s_mov_b64 s[10:11], 0
.LBB2_582:                              ;   Parent Loop BB2_13 Depth=1
                                        ; =>  This Inner Loop Header: Depth=2
	v_mov_b32_e32 v3, s11
	v_add_co_u32_e32 v6, vcc, s10, v0
	v_addc_co_u32_e32 v7, vcc, v1, v3, vcc
	global_load_ubyte v5, v[6:7], off
	v_add_co_u32_e32 v6, vcc, s10, v70
	s_add_u32 s10, s10, 1
	v_addc_co_u32_e32 v7, vcc, v71, v3, vcc
	s_addc_u32 s11, s11, 0
	v_cmp_eq_u32_e32 vcc, s10, v2
	s_or_b64 s[4:5], vcc, s[4:5]
	s_waitcnt vmcnt(0)
	global_store_byte v[6:7], v5, off
	s_andn2_b64 exec, exec, s[4:5]
	s_cbranch_execnz .LBB2_582
; %bb.583:                              ;   in Loop: Header=BB2_13 Depth=1
	s_or_b64 exec, exec, s[4:5]
	s_andn2_b64 vcc, exec, s[76:77]
	s_cbranch_vccnz .LBB2_709
; %bb.584:                              ;   in Loop: Header=BB2_13 Depth=1
	v_xor_b32_e32 v8, 0x3fb0bb5f, v4
	v_add_u32_e32 v9, 4, v4
	s_mov_b32 s28, 0
	s_mov_b64 s[10:11], 0
	v_mov_b32_e32 v5, 0
	v_mov_b32_e32 v10, 0x58
	v_pk_mov_b32 v[2:3], v[70:71], v[70:71] op_sel:[0,1]
	s_branch .LBB2_588
.LBB2_585:                              ;   in Loop: Header=BB2_588 Depth=2
	s_or_b64 exec, exec, s[18:19]
	s_orn2_b64 s[14:15], s[14:15], exec
.LBB2_586:                              ;   in Loop: Header=BB2_588 Depth=2
	s_or_b64 exec, exec, s[4:5]
	s_orn2_b64 s[14:15], s[14:15], exec
.LBB2_587:                              ;   in Loop: Header=BB2_588 Depth=2
	s_or_b64 exec, exec, s[12:13]
	s_add_i32 s28, s28, 1
	s_cmp_eq_u32 s28, s66
	s_cselect_b64 s[4:5], -1, 0
	s_or_b64 s[4:5], s[14:15], s[4:5]
	s_and_b64 s[4:5], exec, s[4:5]
	s_or_b64 s[10:11], s[4:5], s[10:11]
	v_mov_b32_e32 v10, v6
	s_andn2_b64 exec, exec, s[10:11]
	s_cbranch_execz .LBB2_708
.LBB2_588:                              ;   Parent Loop BB2_13 Depth=1
                                        ; =>  This Loop Header: Depth=2
                                        ;       Child Loop BB2_594 Depth 3
                                        ;       Child Loop BB2_613 Depth 3
	;; [unrolled: 1-line block ×3, first 2 shown]
                                        ;         Child Loop BB2_624 Depth 4
                                        ;       Child Loop BB2_638 Depth 3
                                        ;       Child Loop BB2_657 Depth 3
	;; [unrolled: 1-line block ×3, first 2 shown]
                                        ;         Child Loop BB2_668 Depth 4
	v_and_b32_e32 v11, 3, v2
	v_cmp_ne_u32_e32 vcc, 0, v11
                                        ; implicit-def: $vgpr15
	s_and_saveexec_b64 s[4:5], vcc
	s_xor_b64 s[12:13], exec, s[4:5]
	s_cbranch_execz .LBB2_611
; %bb.589:                              ;   in Loop: Header=BB2_588 Depth=2
	v_cmp_gt_i32_e64 s[4:5], 3, v11
	v_mov_b32_e32 v6, 0
	s_and_saveexec_b64 s[14:15], s[4:5]
	s_cbranch_execz .LBB2_593
; %bb.590:                              ;   in Loop: Header=BB2_588 Depth=2
	v_cmp_ne_u32_e64 s[4:5], 2, v11
	v_mov_b32_e32 v0, 0
	s_and_saveexec_b64 s[16:17], s[4:5]
	s_cbranch_execz .LBB2_592
; %bb.591:                              ;   in Loop: Header=BB2_588 Depth=2
	global_load_ubyte v0, v[2:3], off offset:2
	s_waitcnt vmcnt(0)
	v_lshlrev_b32_e32 v0, 16, v0
.LBB2_592:                              ;   in Loop: Header=BB2_588 Depth=2
	s_or_b64 exec, exec, s[16:17]
	global_load_ubyte v1, v[2:3], off offset:1
	s_waitcnt vmcnt(0)
	v_lshl_or_b32 v6, v1, 8, v0
.LBB2_593:                              ;   in Loop: Header=BB2_588 Depth=2
	s_or_b64 exec, exec, s[14:15]
	global_load_ubyte v7, v[2:3], off
	v_sub_u32_e32 v12, 4, v11
	v_lshlrev_b32_e32 v17, 3, v11
	v_add_co_u32_e64 v0, s[4:5], v2, v12
	v_add_u32_e32 v14, v4, v11
	s_mov_b64 s[14:15], 0
	v_addc_co_u32_e64 v1, s[4:5], 0, v3, s[4:5]
	v_lshlrev_b32_e32 v16, 3, v12
	v_mov_b32_e32 v13, v8
	s_waitcnt vmcnt(0)
	v_or_b32_e32 v6, v6, v7
	v_lshlrev_b32_e32 v6, v17, v6
.LBB2_594:                              ;   Parent Loop BB2_13 Depth=1
                                        ;     Parent Loop BB2_588 Depth=2
                                        ; =>    This Inner Loop Header: Depth=3
	global_load_dword v12, v[0:1], off
	v_lshrrev_b32_e32 v6, v17, v6
	v_mul_lo_u32 v7, v13, s96
	v_add_co_u32_e64 v0, s[4:5], 4, v0
	v_addc_co_u32_e64 v1, s[4:5], 0, v1, s[4:5]
	v_add_u32_e32 v14, -4, v14
	v_cmp_gt_u32_e64 s[4:5], 8, v14
	s_or_b64 s[14:15], s[4:5], s[14:15]
	s_waitcnt vmcnt(0)
	v_lshl_or_b32 v13, v12, v16, v6
	v_mul_lo_u32 v13, v13, s96
	v_xor_b32_sdwa v13, v13, v13 dst_sel:DWORD dst_unused:UNUSED_PAD src0_sel:BYTE_3 src1_sel:DWORD
	v_mul_lo_u32 v13, v13, s96
	v_mov_b32_e32 v6, v12
	v_xor_b32_e32 v13, v13, v7
	s_andn2_b64 exec, exec, s[14:15]
	s_cbranch_execnz .LBB2_594
; %bb.595:                              ;   in Loop: Header=BB2_588 Depth=2
	s_or_b64 exec, exec, s[14:15]
	v_add_co_u32_e64 v6, s[4:5], -4, v0
	v_addc_co_u32_e64 v7, s[4:5], -1, v1, s[4:5]
	v_add_u32_e32 v18, -4, v14
	v_cmp_ge_i32_e64 s[4:5], v18, v11
                                        ; implicit-def: $vgpr15
	s_and_saveexec_b64 s[14:15], s[4:5]
	s_xor_b64 s[14:15], exec, s[14:15]
	s_cbranch_execz .LBB2_605
; %bb.596:                              ;   in Loop: Header=BB2_588 Depth=2
	v_cmp_lt_i32_e64 s[4:5], 2, v11
	s_mov_b64 s[16:17], 0
                                        ; implicit-def: $vgpr15
	s_and_saveexec_b64 s[18:19], s[4:5]
	s_xor_b64 s[4:5], exec, s[18:19]
	s_cbranch_execnz .LBB2_684
; %bb.597:                              ;   in Loop: Header=BB2_588 Depth=2
	s_or_saveexec_b64 s[18:19], s[4:5]
                                        ; implicit-def: $sgpr20
	s_xor_b64 exec, exec, s[18:19]
	s_cbranch_execnz .LBB2_685
.LBB2_598:                              ;   in Loop: Header=BB2_588 Depth=2
	s_or_b64 exec, exec, s[18:19]
	v_mov_b32_e32 v19, s20
	s_and_saveexec_b64 s[4:5], s[16:17]
	s_cbranch_execz .LBB2_600
.LBB2_599:                              ;   in Loop: Header=BB2_588 Depth=2
	global_load_ubyte v19, v[6:7], off offset:5
	s_waitcnt vmcnt(0)
	v_lshl_or_b32 v19, v19, 8, v15
.LBB2_600:                              ;   in Loop: Header=BB2_588 Depth=2
	s_or_b64 exec, exec, s[4:5]
	global_load_ubyte v15, v[0:1], off
	v_lshrrev_b32_e32 v20, v17, v12
	v_add_co_u32_e64 v6, s[4:5], v6, v11
	v_mul_lo_u32 v21, v13, s96
	v_addc_co_u32_e64 v7, s[4:5], 0, v7, s[4:5]
	v_sub_u32_e32 v17, v18, v11
	v_cmp_lt_i32_e64 s[4:5], 1, v17
	s_mov_b64 s[16:17], 0
	s_waitcnt vmcnt(0)
	v_or_b32_e32 v15, v19, v15
	v_lshl_or_b32 v15, v15, v16, v20
	v_mul_lo_u32 v15, v15, s96
	v_xor_b32_sdwa v15, v15, v15 dst_sel:DWORD dst_unused:UNUSED_PAD src0_sel:BYTE_3 src1_sel:DWORD
	v_mul_lo_u32 v15, v15, s96
	v_xor_b32_e32 v15, v15, v21
	s_and_saveexec_b64 s[18:19], s[4:5]
	s_xor_b64 s[18:19], exec, s[18:19]
	s_cbranch_execnz .LBB2_686
; %bb.601:                              ;   in Loop: Header=BB2_588 Depth=2
	s_andn2_saveexec_b64 s[18:19], s[18:19]
	s_cbranch_execnz .LBB2_689
.LBB2_602:                              ;   in Loop: Header=BB2_588 Depth=2
	s_or_b64 exec, exec, s[18:19]
	s_and_saveexec_b64 s[4:5], s[16:17]
	s_cbranch_execz .LBB2_604
.LBB2_603:                              ;   in Loop: Header=BB2_588 Depth=2
	global_load_ubyte v6, v[6:7], off offset:4
	s_waitcnt vmcnt(0)
	v_xor_b32_e32 v6, v15, v6
	v_mul_lo_u32 v15, v6, s96
.LBB2_604:                              ;   in Loop: Header=BB2_588 Depth=2
	s_or_b64 exec, exec, s[4:5]
                                        ; implicit-def: $vgpr17
                                        ; implicit-def: $vgpr16
                                        ; implicit-def: $vgpr6_vgpr7
.LBB2_605:                              ;   in Loop: Header=BB2_588 Depth=2
	s_andn2_saveexec_b64 s[14:15], s[14:15]
	s_cbranch_execz .LBB2_674
; %bb.606:                              ;   in Loop: Header=BB2_588 Depth=2
	v_cmp_lt_i32_e64 s[4:5], 5, v14
	s_mov_b64 s[16:17], 0
                                        ; implicit-def: $vgpr15
	s_and_saveexec_b64 s[18:19], s[4:5]
	s_xor_b64 s[4:5], exec, s[18:19]
	s_cbranch_execnz .LBB2_690
; %bb.607:                              ;   in Loop: Header=BB2_588 Depth=2
	s_or_saveexec_b64 s[18:19], s[4:5]
                                        ; implicit-def: $sgpr20
	s_xor_b64 exec, exec, s[18:19]
	s_cbranch_execnz .LBB2_691
.LBB2_608:                              ;   in Loop: Header=BB2_588 Depth=2
	s_or_b64 exec, exec, s[18:19]
	v_mov_b32_e32 v6, s20
	s_and_saveexec_b64 s[4:5], s[16:17]
	s_cbranch_execz .LBB2_610
.LBB2_609:                              ;   in Loop: Header=BB2_588 Depth=2
	global_load_ubyte v0, v[0:1], off
	s_waitcnt vmcnt(0)
	v_or_b32_e32 v6, v15, v0
.LBB2_610:                              ;   in Loop: Header=BB2_588 Depth=2
	s_or_b64 exec, exec, s[4:5]
	v_lshrrev_b32_e32 v0, v17, v12
	v_lshl_or_b32 v0, v6, v16, v0
	v_xor_b32_e32 v0, v0, v13
	v_mul_lo_u32 v15, v0, s96
	s_or_b64 exec, exec, s[14:15]
.LBB2_611:                              ;   in Loop: Header=BB2_588 Depth=2
	s_andn2_saveexec_b64 s[12:13], s[12:13]
	s_cbranch_execz .LBB2_619
.LBB2_612:                              ;   in Loop: Header=BB2_588 Depth=2
	s_mov_b64 s[14:15], 0
	v_mov_b32_e32 v6, v9
	v_pk_mov_b32 v[0:1], v[2:3], v[2:3] op_sel:[0,1]
	v_mov_b32_e32 v15, v8
.LBB2_613:                              ;   Parent Loop BB2_13 Depth=1
                                        ;     Parent Loop BB2_588 Depth=2
                                        ; =>    This Inner Loop Header: Depth=3
	global_load_dword v7, v[0:1], off
	v_add_co_u32_e64 v0, s[4:5], 4, v0
	v_addc_co_u32_e64 v1, s[4:5], 0, v1, s[4:5]
	v_add_u32_e32 v6, -4, v6
	v_mul_lo_u32 v12, v15, s96
	v_cmp_gt_u32_e64 s[4:5], 8, v6
	s_or_b64 s[14:15], s[4:5], s[14:15]
	s_waitcnt vmcnt(0)
	v_mul_lo_u32 v7, v7, s96
	v_xor_b32_sdwa v7, v7, v7 dst_sel:DWORD dst_unused:UNUSED_PAD src0_sel:BYTE_3 src1_sel:DWORD
	v_mul_lo_u32 v7, v7, s96
	v_xor_b32_e32 v15, v7, v12
	s_andn2_b64 exec, exec, s[14:15]
	s_cbranch_execnz .LBB2_613
; %bb.614:                              ;   in Loop: Header=BB2_588 Depth=2
	s_or_b64 exec, exec, s[14:15]
	v_cmp_lt_i32_e64 s[4:5], 5, v6
	s_mov_b64 s[14:15], 0
                                        ; implicit-def: $vgpr7
	s_and_saveexec_b64 s[16:17], s[4:5]
	s_xor_b64 s[16:17], exec, s[16:17]
	s_cbranch_execnz .LBB2_675
; %bb.615:                              ;   in Loop: Header=BB2_588 Depth=2
	s_andn2_saveexec_b64 s[16:17], s[16:17]
	s_cbranch_execnz .LBB2_678
.LBB2_616:                              ;   in Loop: Header=BB2_588 Depth=2
	s_or_b64 exec, exec, s[16:17]
	s_and_saveexec_b64 s[4:5], s[14:15]
	s_cbranch_execz .LBB2_618
.LBB2_617:                              ;   in Loop: Header=BB2_588 Depth=2
	global_load_ubyte v0, v[0:1], off
	s_waitcnt vmcnt(0)
	v_xor_b32_e32 v0, v7, v0
	v_mul_lo_u32 v15, v0, s96
.LBB2_618:                              ;   in Loop: Header=BB2_588 Depth=2
	s_or_b64 exec, exec, s[4:5]
.LBB2_619:                              ;   in Loop: Header=BB2_588 Depth=2
	s_or_b64 exec, exec, s[12:13]
	v_lshrrev_b32_e32 v0, 13, v15
	v_xor_b32_e32 v0, v0, v15
	v_mul_lo_u32 v0, v0, s96
	v_lshrrev_b32_e32 v1, 15, v0
	v_xor_b32_e32 v0, v1, v0
	v_mul_hi_u32 v1, v0, v95
	v_mul_lo_u32 v1, v1, s66
	v_sub_u32_e32 v0, v0, v1
	v_subrev_u32_e32 v1, s66, v0
	v_cmp_le_u32_e64 s[4:5], s66, v0
	v_cndmask_b32_e64 v0, v0, v1, s[4:5]
	v_subrev_u32_e32 v1, s66, v0
	v_cmp_le_u32_e64 s[4:5], s66, v0
	v_cndmask_b32_e64 v12, v0, v1, s[4:5]
	v_mad_u64_u32 v[0:1], s[4:5], v12, 24, v[66:67]
	global_load_dword v13, v[0:1], off offset:8
	v_mov_b32_e32 v6, -1
	s_waitcnt vmcnt(0)
	v_cmp_ne_u32_e64 s[4:5], -1, v13
	s_and_saveexec_b64 s[12:13], s[4:5]
	s_cbranch_execz .LBB2_631
; %bb.620:                              ;   in Loop: Header=BB2_588 Depth=2
	s_mov_b64 s[14:15], 0
	s_branch .LBB2_622
.LBB2_621:                              ;   in Loop: Header=BB2_622 Depth=3
	s_or_b64 exec, exec, s[16:17]
	s_and_b64 s[4:5], exec, s[18:19]
	s_or_b64 s[14:15], s[4:5], s[14:15]
	s_andn2_b64 exec, exec, s[14:15]
	s_cbranch_execz .LBB2_630
.LBB2_622:                              ;   Parent Loop BB2_13 Depth=1
                                        ;     Parent Loop BB2_588 Depth=2
                                        ; =>    This Loop Header: Depth=3
                                        ;         Child Loop BB2_624 Depth 4
	global_load_dwordx2 v[6:7], v[0:1], off
	s_mov_b64 s[18:19], 0
	s_mov_b64 s[24:25], 0
                                        ; implicit-def: $sgpr16_sgpr17
                                        ; implicit-def: $sgpr22_sgpr23
                                        ; implicit-def: $sgpr20_sgpr21
	s_branch .LBB2_624
.LBB2_623:                              ;   in Loop: Header=BB2_624 Depth=4
	s_or_b64 exec, exec, s[26:27]
	s_xor_b64 s[4:5], s[20:21], -1
	s_and_b64 s[26:27], exec, s[22:23]
	s_or_b64 s[18:19], s[26:27], s[18:19]
	s_andn2_b64 s[16:17], s[16:17], exec
	s_and_b64 s[4:5], s[4:5], exec
	s_or_b64 s[16:17], s[16:17], s[4:5]
	s_andn2_b64 exec, exec, s[18:19]
	s_cbranch_execz .LBB2_626
.LBB2_624:                              ;   Parent Loop BB2_13 Depth=1
                                        ;     Parent Loop BB2_588 Depth=2
                                        ;       Parent Loop BB2_622 Depth=3
                                        ; =>      This Inner Loop Header: Depth=4
	v_mov_b32_e32 v16, s25
	s_waitcnt vmcnt(0)
	v_add_co_u32_e64 v14, s[4:5], s24, v6
	v_addc_co_u32_e64 v15, s[4:5], v7, v16, s[4:5]
	flat_load_ubyte v17, v[14:15]
	v_add_co_u32_e64 v14, s[4:5], s24, v2
	v_addc_co_u32_e64 v15, s[4:5], v3, v16, s[4:5]
	global_load_ubyte v14, v[14:15], off
	s_or_b64 s[20:21], s[20:21], exec
	s_or_b64 s[22:23], s[22:23], exec
	s_waitcnt vmcnt(0) lgkmcnt(0)
	v_cmp_eq_u16_e64 s[4:5], v17, v14
	s_and_saveexec_b64 s[26:27], s[4:5]
	s_cbranch_execz .LBB2_623
; %bb.625:                              ;   in Loop: Header=BB2_624 Depth=4
	s_add_u32 s24, s24, 1
	v_cmp_eq_u32_e64 s[4:5], s24, v4
	s_addc_u32 s25, s25, 0
	s_andn2_b64 s[22:23], s[22:23], exec
	s_and_b64 s[4:5], s[4:5], exec
	s_andn2_b64 s[20:21], s[20:21], exec
	s_or_b64 s[22:23], s[22:23], s[4:5]
	s_branch .LBB2_623
.LBB2_626:                              ;   in Loop: Header=BB2_622 Depth=3
	s_or_b64 exec, exec, s[18:19]
	s_mov_b64 s[18:19], -1
	s_mov_b64 s[4:5], -1
	s_and_saveexec_b64 s[20:21], s[16:17]
	s_xor_b64 s[16:17], exec, s[20:21]
; %bb.627:                              ;   in Loop: Header=BB2_622 Depth=3
	v_cmp_ne_u32_e64 s[4:5], v13, v4
	s_orn2_b64 s[4:5], s[4:5], exec
; %bb.628:                              ;   in Loop: Header=BB2_622 Depth=3
	s_or_b64 exec, exec, s[16:17]
	v_mov_b32_e32 v6, v4
                                        ; implicit-def: $vgpr13
	s_and_saveexec_b64 s[16:17], s[4:5]
	s_cbranch_execz .LBB2_621
; %bb.629:                              ;   in Loop: Header=BB2_622 Depth=3
	v_add_u32_e32 v0, 1, v12
	v_cmp_ne_u32_e64 s[4:5], s66, v0
	v_cndmask_b32_e64 v12, 0, v0, s[4:5]
	v_mad_u64_u32 v[0:1], s[4:5], v12, 24, v[66:67]
	global_load_dword v13, v[0:1], off offset:8
	v_mov_b32_e32 v6, -1
	s_waitcnt vmcnt(0)
	v_cmp_eq_u32_e64 s[4:5], -1, v13
	s_orn2_b64 s[18:19], s[4:5], exec
	s_branch .LBB2_621
.LBB2_630:                              ;   in Loop: Header=BB2_588 Depth=2
	s_or_b64 exec, exec, s[14:15]
.LBB2_631:                              ;   in Loop: Header=BB2_588 Depth=2
	s_or_b64 exec, exec, s[12:13]
	v_cmp_eq_u32_e64 s[4:5], -1, v6
	s_mov_b64 s[14:15], -1
	v_mov_b32_e32 v6, 0x52
	s_and_saveexec_b64 s[12:13], s[4:5]
	s_cbranch_execz .LBB2_587
; %bb.632:                              ;   in Loop: Header=BB2_588 Depth=2
	global_store_dwordx3 v[0:1], v[2:4], off
	global_store_byte v[0:1], v59, off offset:16
                                        ; implicit-def: $vgpr15
	s_and_saveexec_b64 s[4:5], vcc
	s_xor_b64 s[4:5], exec, s[4:5]
	s_cbranch_execz .LBB2_655
; %bb.633:                              ;   in Loop: Header=BB2_588 Depth=2
	v_cmp_gt_i32_e32 vcc, 3, v11
	v_mov_b32_e32 v6, 0
	s_and_saveexec_b64 s[14:15], vcc
	s_cbranch_execz .LBB2_637
; %bb.634:                              ;   in Loop: Header=BB2_588 Depth=2
	v_cmp_ne_u32_e32 vcc, 2, v11
	v_mov_b32_e32 v0, 0
	s_and_saveexec_b64 s[16:17], vcc
	s_cbranch_execz .LBB2_636
; %bb.635:                              ;   in Loop: Header=BB2_588 Depth=2
	global_load_ubyte v0, v[2:3], off offset:2
	s_waitcnt vmcnt(0)
	v_lshlrev_b32_e32 v0, 16, v0
.LBB2_636:                              ;   in Loop: Header=BB2_588 Depth=2
	s_or_b64 exec, exec, s[16:17]
	global_load_ubyte v1, v[2:3], off offset:1
	s_waitcnt vmcnt(0)
	v_lshl_or_b32 v6, v1, 8, v0
.LBB2_637:                              ;   in Loop: Header=BB2_588 Depth=2
	s_or_b64 exec, exec, s[14:15]
	global_load_ubyte v7, v[2:3], off
	v_sub_u32_e32 v12, 4, v11
	v_lshlrev_b32_e32 v17, 3, v11
	v_add_co_u32_e32 v0, vcc, v2, v12
	v_add_u32_e32 v14, v4, v11
	s_mov_b64 s[14:15], 0
	v_addc_co_u32_e32 v1, vcc, 0, v3, vcc
	v_lshlrev_b32_e32 v16, 3, v12
	v_mov_b32_e32 v13, v8
	s_waitcnt vmcnt(0)
	v_or_b32_e32 v6, v6, v7
	v_lshlrev_b32_e32 v6, v17, v6
.LBB2_638:                              ;   Parent Loop BB2_13 Depth=1
                                        ;     Parent Loop BB2_588 Depth=2
                                        ; =>    This Inner Loop Header: Depth=3
	global_load_dword v12, v[0:1], off
	v_lshrrev_b32_e32 v6, v17, v6
	v_mul_lo_u32 v7, v13, s96
	v_add_co_u32_e32 v0, vcc, 4, v0
	v_addc_co_u32_e32 v1, vcc, 0, v1, vcc
	v_add_u32_e32 v14, -4, v14
	v_cmp_gt_u32_e32 vcc, 8, v14
	s_or_b64 s[14:15], vcc, s[14:15]
	s_waitcnt vmcnt(0)
	v_lshl_or_b32 v13, v12, v16, v6
	v_mul_lo_u32 v13, v13, s96
	v_xor_b32_sdwa v13, v13, v13 dst_sel:DWORD dst_unused:UNUSED_PAD src0_sel:BYTE_3 src1_sel:DWORD
	v_mul_lo_u32 v13, v13, s96
	v_mov_b32_e32 v6, v12
	v_xor_b32_e32 v13, v13, v7
	s_andn2_b64 exec, exec, s[14:15]
	s_cbranch_execnz .LBB2_638
; %bb.639:                              ;   in Loop: Header=BB2_588 Depth=2
	s_or_b64 exec, exec, s[14:15]
	v_add_co_u32_e32 v6, vcc, -4, v0
	v_addc_co_u32_e32 v7, vcc, -1, v1, vcc
	v_add_u32_e32 v18, -4, v14
	v_cmp_ge_i32_e32 vcc, v18, v11
                                        ; implicit-def: $vgpr15
	s_and_saveexec_b64 s[14:15], vcc
	s_xor_b64 s[14:15], exec, s[14:15]
	s_cbranch_execz .LBB2_649
; %bb.640:                              ;   in Loop: Header=BB2_588 Depth=2
	v_cmp_lt_i32_e32 vcc, 2, v11
	s_mov_b64 s[16:17], 0
                                        ; implicit-def: $vgpr15
	s_and_saveexec_b64 s[18:19], vcc
	s_xor_b64 s[18:19], exec, s[18:19]
	s_cbranch_execnz .LBB2_700
; %bb.641:                              ;   in Loop: Header=BB2_588 Depth=2
	s_or_saveexec_b64 s[18:19], s[18:19]
                                        ; implicit-def: $sgpr20
	s_xor_b64 exec, exec, s[18:19]
	s_cbranch_execnz .LBB2_701
.LBB2_642:                              ;   in Loop: Header=BB2_588 Depth=2
	s_or_b64 exec, exec, s[18:19]
	v_mov_b32_e32 v19, s20
	s_and_saveexec_b64 s[18:19], s[16:17]
	s_cbranch_execz .LBB2_644
.LBB2_643:                              ;   in Loop: Header=BB2_588 Depth=2
	global_load_ubyte v19, v[6:7], off offset:5
	s_waitcnt vmcnt(0)
	v_lshl_or_b32 v19, v19, 8, v15
.LBB2_644:                              ;   in Loop: Header=BB2_588 Depth=2
	s_or_b64 exec, exec, s[18:19]
	global_load_ubyte v15, v[0:1], off
	v_lshrrev_b32_e32 v17, v17, v12
	v_add_co_u32_e32 v6, vcc, v6, v11
	v_mul_lo_u32 v20, v13, s96
	v_addc_co_u32_e32 v7, vcc, 0, v7, vcc
	v_sub_u32_e32 v11, v18, v11
	v_cmp_lt_i32_e32 vcc, 1, v11
	s_mov_b64 s[16:17], 0
	s_waitcnt vmcnt(0)
	v_or_b32_e32 v15, v19, v15
	v_lshl_or_b32 v15, v15, v16, v17
	v_mul_lo_u32 v15, v15, s96
	v_xor_b32_sdwa v15, v15, v15 dst_sel:DWORD dst_unused:UNUSED_PAD src0_sel:BYTE_3 src1_sel:DWORD
	v_mul_lo_u32 v15, v15, s96
	v_xor_b32_e32 v15, v15, v20
	s_and_saveexec_b64 s[18:19], vcc
	s_xor_b64 s[18:19], exec, s[18:19]
	s_cbranch_execnz .LBB2_702
; %bb.645:                              ;   in Loop: Header=BB2_588 Depth=2
	s_andn2_saveexec_b64 s[18:19], s[18:19]
	s_cbranch_execnz .LBB2_705
.LBB2_646:                              ;   in Loop: Header=BB2_588 Depth=2
	s_or_b64 exec, exec, s[18:19]
	s_and_saveexec_b64 s[18:19], s[16:17]
	s_cbranch_execz .LBB2_648
.LBB2_647:                              ;   in Loop: Header=BB2_588 Depth=2
	global_load_ubyte v6, v[6:7], off offset:4
	s_waitcnt vmcnt(0)
	v_xor_b32_e32 v6, v15, v6
	v_mul_lo_u32 v15, v6, s96
.LBB2_648:                              ;   in Loop: Header=BB2_588 Depth=2
	s_or_b64 exec, exec, s[18:19]
                                        ; implicit-def: $vgpr17
                                        ; implicit-def: $vgpr16
                                        ; implicit-def: $vgpr6_vgpr7
.LBB2_649:                              ;   in Loop: Header=BB2_588 Depth=2
	s_andn2_saveexec_b64 s[14:15], s[14:15]
	s_cbranch_execz .LBB2_692
; %bb.650:                              ;   in Loop: Header=BB2_588 Depth=2
	v_cmp_lt_i32_e32 vcc, 5, v14
	s_mov_b64 s[16:17], 0
                                        ; implicit-def: $vgpr11
	s_and_saveexec_b64 s[18:19], vcc
	s_xor_b64 s[18:19], exec, s[18:19]
	s_cbranch_execnz .LBB2_706
; %bb.651:                              ;   in Loop: Header=BB2_588 Depth=2
	s_or_saveexec_b64 s[18:19], s[18:19]
                                        ; implicit-def: $sgpr20
	s_xor_b64 exec, exec, s[18:19]
	s_cbranch_execnz .LBB2_707
.LBB2_652:                              ;   in Loop: Header=BB2_588 Depth=2
	s_or_b64 exec, exec, s[18:19]
	v_mov_b32_e32 v6, s20
	s_and_saveexec_b64 s[18:19], s[16:17]
	s_cbranch_execz .LBB2_654
.LBB2_653:                              ;   in Loop: Header=BB2_588 Depth=2
	global_load_ubyte v0, v[0:1], off
	s_waitcnt vmcnt(0)
	v_or_b32_e32 v6, v11, v0
.LBB2_654:                              ;   in Loop: Header=BB2_588 Depth=2
	s_or_b64 exec, exec, s[18:19]
	v_lshrrev_b32_e32 v0, v17, v12
	v_lshl_or_b32 v0, v6, v16, v0
	v_xor_b32_e32 v0, v0, v13
	v_mul_lo_u32 v15, v0, s96
	s_or_b64 exec, exec, s[14:15]
.LBB2_655:                              ;   in Loop: Header=BB2_588 Depth=2
	s_andn2_saveexec_b64 s[4:5], s[4:5]
	s_cbranch_execz .LBB2_663
.LBB2_656:                              ;   in Loop: Header=BB2_588 Depth=2
	s_mov_b64 s[14:15], 0
	v_mov_b32_e32 v6, v9
	v_pk_mov_b32 v[0:1], v[2:3], v[2:3] op_sel:[0,1]
	v_mov_b32_e32 v15, v8
.LBB2_657:                              ;   Parent Loop BB2_13 Depth=1
                                        ;     Parent Loop BB2_588 Depth=2
                                        ; =>    This Inner Loop Header: Depth=3
	global_load_dword v7, v[0:1], off
	v_add_co_u32_e32 v0, vcc, 4, v0
	v_addc_co_u32_e32 v1, vcc, 0, v1, vcc
	v_add_u32_e32 v6, -4, v6
	v_mul_lo_u32 v11, v15, s96
	v_cmp_gt_u32_e32 vcc, 8, v6
	s_or_b64 s[14:15], vcc, s[14:15]
	s_waitcnt vmcnt(0)
	v_mul_lo_u32 v7, v7, s96
	v_xor_b32_sdwa v7, v7, v7 dst_sel:DWORD dst_unused:UNUSED_PAD src0_sel:BYTE_3 src1_sel:DWORD
	v_mul_lo_u32 v7, v7, s96
	v_xor_b32_e32 v15, v7, v11
	s_andn2_b64 exec, exec, s[14:15]
	s_cbranch_execnz .LBB2_657
; %bb.658:                              ;   in Loop: Header=BB2_588 Depth=2
	s_or_b64 exec, exec, s[14:15]
	v_cmp_lt_i32_e32 vcc, 5, v6
	s_mov_b64 s[14:15], 0
                                        ; implicit-def: $vgpr7
	s_and_saveexec_b64 s[16:17], vcc
	s_xor_b64 s[16:17], exec, s[16:17]
	s_cbranch_execnz .LBB2_693
; %bb.659:                              ;   in Loop: Header=BB2_588 Depth=2
	s_andn2_saveexec_b64 s[16:17], s[16:17]
	s_cbranch_execnz .LBB2_696
.LBB2_660:                              ;   in Loop: Header=BB2_588 Depth=2
	s_or_b64 exec, exec, s[16:17]
	s_and_saveexec_b64 s[16:17], s[14:15]
	s_cbranch_execz .LBB2_662
.LBB2_661:                              ;   in Loop: Header=BB2_588 Depth=2
	global_load_ubyte v0, v[0:1], off
	s_waitcnt vmcnt(0)
	v_xor_b32_e32 v0, v7, v0
	v_mul_lo_u32 v15, v0, s96
.LBB2_662:                              ;   in Loop: Header=BB2_588 Depth=2
	s_or_b64 exec, exec, s[16:17]
.LBB2_663:                              ;   in Loop: Header=BB2_588 Depth=2
	s_or_b64 exec, exec, s[4:5]
	v_lshrrev_b32_e32 v0, 13, v15
	v_xor_b32_e32 v0, v0, v15
	v_mul_lo_u32 v0, v0, s96
	v_lshrrev_b32_e32 v1, 15, v0
	v_xor_b32_e32 v0, v1, v0
	v_mul_hi_u32 v1, v0, v84
	v_mul_lo_u32 v1, v1, v41
	v_sub_u32_e32 v0, v0, v1
	v_sub_u32_e32 v1, v0, v41
	v_cmp_ge_u32_e32 vcc, v0, v41
	v_cndmask_b32_e32 v0, v0, v1, vcc
	v_sub_u32_e32 v1, v0, v41
	v_cmp_ge_u32_e32 vcc, v0, v41
	v_cndmask_b32_e32 v11, v0, v1, vcc
	v_mad_u64_u32 v[0:1], s[4:5], v11, 56, v[42:43]
	global_load_dword v12, v[0:1], off offset:8
	v_mov_b32_e32 v6, -1
	s_waitcnt vmcnt(0)
	v_cmp_ne_u32_e32 vcc, -1, v12
	s_and_saveexec_b64 s[4:5], vcc
	s_cbranch_execz .LBB2_680
; %bb.664:                              ;   in Loop: Header=BB2_588 Depth=2
	s_mov_b64 s[14:15], 0
	s_branch .LBB2_666
.LBB2_665:                              ;   in Loop: Header=BB2_666 Depth=3
	s_or_b64 exec, exec, s[16:17]
	s_and_b64 s[16:17], exec, s[18:19]
	s_or_b64 s[14:15], s[16:17], s[14:15]
	s_andn2_b64 exec, exec, s[14:15]
	s_cbranch_execz .LBB2_679
.LBB2_666:                              ;   Parent Loop BB2_13 Depth=1
                                        ;     Parent Loop BB2_588 Depth=2
                                        ; =>    This Loop Header: Depth=3
                                        ;         Child Loop BB2_668 Depth 4
	global_load_dwordx2 v[6:7], v[0:1], off
	s_mov_b64 s[18:19], 0
	s_mov_b64 s[24:25], 0
                                        ; implicit-def: $sgpr16_sgpr17
                                        ; implicit-def: $sgpr22_sgpr23
                                        ; implicit-def: $sgpr20_sgpr21
	s_branch .LBB2_668
.LBB2_667:                              ;   in Loop: Header=BB2_668 Depth=4
	s_or_b64 exec, exec, s[26:27]
	s_xor_b64 s[26:27], s[20:21], -1
	s_and_b64 s[30:31], exec, s[22:23]
	s_or_b64 s[18:19], s[30:31], s[18:19]
	s_andn2_b64 s[16:17], s[16:17], exec
	s_and_b64 s[26:27], s[26:27], exec
	s_or_b64 s[16:17], s[16:17], s[26:27]
	s_andn2_b64 exec, exec, s[18:19]
	s_cbranch_execz .LBB2_670
.LBB2_668:                              ;   Parent Loop BB2_13 Depth=1
                                        ;     Parent Loop BB2_588 Depth=2
                                        ;       Parent Loop BB2_666 Depth=3
                                        ; =>      This Inner Loop Header: Depth=4
	v_mov_b32_e32 v13, s25
	s_waitcnt vmcnt(0)
	v_add_co_u32_e32 v14, vcc, s24, v6
	v_addc_co_u32_e32 v15, vcc, v7, v13, vcc
	flat_load_ubyte v16, v[14:15]
	v_add_co_u32_e32 v14, vcc, s24, v2
	v_addc_co_u32_e32 v15, vcc, v3, v13, vcc
	global_load_ubyte v13, v[14:15], off
	s_or_b64 s[20:21], s[20:21], exec
	s_or_b64 s[22:23], s[22:23], exec
	s_waitcnt vmcnt(0) lgkmcnt(0)
	v_cmp_eq_u16_e32 vcc, v16, v13
	s_and_saveexec_b64 s[26:27], vcc
	s_cbranch_execz .LBB2_667
; %bb.669:                              ;   in Loop: Header=BB2_668 Depth=4
	s_add_u32 s24, s24, 1
	v_cmp_eq_u32_e32 vcc, s24, v4
	s_addc_u32 s25, s25, 0
	s_andn2_b64 s[22:23], s[22:23], exec
	s_and_b64 s[30:31], vcc, exec
	s_andn2_b64 s[20:21], s[20:21], exec
	s_or_b64 s[22:23], s[22:23], s[30:31]
	s_branch .LBB2_667
.LBB2_670:                              ;   in Loop: Header=BB2_666 Depth=3
	s_or_b64 exec, exec, s[18:19]
	s_mov_b64 s[18:19], -1
	s_mov_b64 s[20:21], -1
	s_and_saveexec_b64 s[22:23], s[16:17]
	s_xor_b64 s[16:17], exec, s[22:23]
; %bb.671:                              ;   in Loop: Header=BB2_666 Depth=3
	v_cmp_ne_u32_e32 vcc, v12, v4
	s_orn2_b64 s[20:21], vcc, exec
; %bb.672:                              ;   in Loop: Header=BB2_666 Depth=3
	s_or_b64 exec, exec, s[16:17]
	v_mov_b32_e32 v6, v4
                                        ; implicit-def: $vgpr12
	s_and_saveexec_b64 s[16:17], s[20:21]
	s_cbranch_execz .LBB2_665
; %bb.673:                              ;   in Loop: Header=BB2_666 Depth=3
	v_add_u32_e32 v0, 1, v11
	v_cmp_ne_u32_e32 vcc, v0, v41
	v_cndmask_b32_e32 v11, 0, v0, vcc
	v_mad_u64_u32 v[0:1], s[18:19], v11, 56, v[42:43]
	global_load_dword v12, v[0:1], off offset:8
	v_mov_b32_e32 v6, -1
	s_waitcnt vmcnt(0)
	v_cmp_eq_u32_e32 vcc, -1, v12
	s_orn2_b64 s[18:19], vcc, exec
	s_branch .LBB2_665
.LBB2_674:                              ;   in Loop: Header=BB2_588 Depth=2
	s_or_b64 exec, exec, s[14:15]
	s_andn2_saveexec_b64 s[12:13], s[12:13]
	s_cbranch_execnz .LBB2_612
	s_branch .LBB2_619
.LBB2_675:                              ;   in Loop: Header=BB2_588 Depth=2
	v_cmp_lt_i32_e64 s[4:5], 6, v6
	v_mov_b32_e32 v7, v15
	s_and_saveexec_b64 s[14:15], s[4:5]
	s_cbranch_execz .LBB2_677
; %bb.676:                              ;   in Loop: Header=BB2_588 Depth=2
	global_load_ubyte v7, v[0:1], off offset:2
	s_waitcnt vmcnt(0)
	v_lshlrev_b32_e32 v7, 16, v7
	v_xor_b32_e32 v7, v7, v15
.LBB2_677:                              ;   in Loop: Header=BB2_588 Depth=2
	s_or_b64 exec, exec, s[14:15]
	global_load_ubyte v12, v[0:1], off offset:1
	s_mov_b64 s[14:15], exec
	s_waitcnt vmcnt(0)
	v_lshlrev_b32_e32 v12, 8, v12
	v_xor_b32_e32 v7, v12, v7
	s_andn2_saveexec_b64 s[16:17], s[16:17]
	s_cbranch_execz .LBB2_616
.LBB2_678:                              ;   in Loop: Header=BB2_588 Depth=2
	v_cmp_eq_u32_e64 s[4:5], 5, v6
	s_andn2_b64 s[14:15], s[14:15], exec
	s_and_b64 s[4:5], s[4:5], exec
	s_or_b64 s[14:15], s[14:15], s[4:5]
	v_mov_b32_e32 v7, v15
	s_or_b64 exec, exec, s[16:17]
	s_and_saveexec_b64 s[4:5], s[14:15]
	s_cbranch_execnz .LBB2_617
	s_branch .LBB2_618
.LBB2_679:                              ;   in Loop: Header=BB2_588 Depth=2
	s_or_b64 exec, exec, s[14:15]
.LBB2_680:                              ;   in Loop: Header=BB2_588 Depth=2
	s_or_b64 exec, exec, s[4:5]
	v_cmp_ne_u32_e32 vcc, -1, v6
	s_mov_b64 s[14:15], -1
	v_mov_b32_e32 v6, 0x58
	s_and_saveexec_b64 s[4:5], vcc
	s_cbranch_execz .LBB2_586
; %bb.681:                              ;   in Loop: Header=BB2_588 Depth=2
	global_load_ubyte v6, v[0:1], off offset:48
	s_mov_b64 s[16:17], 0
                                        ; implicit-def: $sgpr14_sgpr15
	s_waitcnt vmcnt(0)
	v_cmp_lt_i16_e32 vcc, s97, v6
	s_and_saveexec_b64 s[18:19], vcc
	s_xor_b64 s[18:19], exec, s[18:19]
	s_cbranch_execnz .LBB2_697
; %bb.682:                              ;   in Loop: Header=BB2_588 Depth=2
	s_andn2_saveexec_b64 s[18:19], s[18:19]
	s_cbranch_execnz .LBB2_698
.LBB2_683:                              ;   in Loop: Header=BB2_588 Depth=2
	s_or_b64 exec, exec, s[18:19]
	s_and_saveexec_b64 s[18:19], s[16:17]
	s_cbranch_execz .LBB2_585
	s_branch .LBB2_699
.LBB2_684:                              ;   in Loop: Header=BB2_588 Depth=2
	global_load_ubyte v15, v[6:7], off offset:6
	s_mov_b64 s[16:17], exec
	s_waitcnt vmcnt(0)
	v_lshlrev_b32_e32 v15, 16, v15
	s_or_saveexec_b64 s[18:19], s[4:5]
                                        ; implicit-def: $sgpr20
	s_xor_b64 exec, exec, s[18:19]
	s_cbranch_execz .LBB2_598
.LBB2_685:                              ;   in Loop: Header=BB2_588 Depth=2
	v_cmp_eq_u32_e64 s[4:5], 2, v11
	s_andn2_b64 s[16:17], s[16:17], exec
	s_and_b64 s[4:5], s[4:5], exec
	s_mov_b32 s20, 0
	v_mov_b32_e32 v15, 0
	s_or_b64 s[16:17], s[16:17], s[4:5]
	s_or_b64 exec, exec, s[18:19]
	v_mov_b32_e32 v19, s20
	s_and_saveexec_b64 s[4:5], s[16:17]
	s_cbranch_execnz .LBB2_599
	s_branch .LBB2_600
.LBB2_686:                              ;   in Loop: Header=BB2_588 Depth=2
	v_cmp_eq_u32_e64 s[4:5], 2, v17
	s_and_saveexec_b64 s[20:21], s[4:5]
	s_cbranch_execz .LBB2_688
; %bb.687:                              ;   in Loop: Header=BB2_588 Depth=2
	global_load_ubyte v16, v[6:7], off offset:5
	s_mov_b64 s[16:17], exec
	s_waitcnt vmcnt(0)
	v_lshlrev_b32_e32 v16, 8, v16
	v_xor_b32_e32 v15, v16, v15
.LBB2_688:                              ;   in Loop: Header=BB2_588 Depth=2
	s_or_b64 exec, exec, s[20:21]
	s_and_b64 s[16:17], s[16:17], exec
                                        ; implicit-def: $vgpr17
	s_andn2_saveexec_b64 s[18:19], s[18:19]
	s_cbranch_execz .LBB2_602
.LBB2_689:                              ;   in Loop: Header=BB2_588 Depth=2
	v_cmp_eq_u32_e64 s[4:5], 1, v17
	s_andn2_b64 s[16:17], s[16:17], exec
	s_and_b64 s[4:5], s[4:5], exec
	s_or_b64 s[16:17], s[16:17], s[4:5]
	s_or_b64 exec, exec, s[18:19]
	s_and_saveexec_b64 s[4:5], s[16:17]
	s_cbranch_execnz .LBB2_603
	s_branch .LBB2_604
.LBB2_690:                              ;   in Loop: Header=BB2_588 Depth=2
	global_load_ubyte v6, v[6:7], off offset:5
	s_mov_b64 s[16:17], exec
	s_waitcnt vmcnt(0)
	v_lshlrev_b32_e32 v15, 8, v6
	s_or_saveexec_b64 s[18:19], s[4:5]
                                        ; implicit-def: $sgpr20
	s_xor_b64 exec, exec, s[18:19]
	s_cbranch_execz .LBB2_608
.LBB2_691:                              ;   in Loop: Header=BB2_588 Depth=2
	v_cmp_eq_u32_e64 s[4:5], 5, v14
	s_andn2_b64 s[16:17], s[16:17], exec
	s_and_b64 s[4:5], s[4:5], exec
	s_mov_b32 s20, 0
	v_mov_b32_e32 v15, 0
	s_or_b64 s[16:17], s[16:17], s[4:5]
	s_or_b64 exec, exec, s[18:19]
	v_mov_b32_e32 v6, s20
	s_and_saveexec_b64 s[4:5], s[16:17]
	s_cbranch_execnz .LBB2_609
	s_branch .LBB2_610
.LBB2_692:                              ;   in Loop: Header=BB2_588 Depth=2
	s_or_b64 exec, exec, s[14:15]
	s_andn2_saveexec_b64 s[4:5], s[4:5]
	s_cbranch_execnz .LBB2_656
	s_branch .LBB2_663
.LBB2_693:                              ;   in Loop: Header=BB2_588 Depth=2
	v_cmp_lt_i32_e32 vcc, 6, v6
	v_mov_b32_e32 v7, v15
	s_and_saveexec_b64 s[14:15], vcc
	s_cbranch_execz .LBB2_695
; %bb.694:                              ;   in Loop: Header=BB2_588 Depth=2
	global_load_ubyte v7, v[0:1], off offset:2
	s_waitcnt vmcnt(0)
	v_lshlrev_b32_e32 v7, 16, v7
	v_xor_b32_e32 v7, v7, v15
.LBB2_695:                              ;   in Loop: Header=BB2_588 Depth=2
	s_or_b64 exec, exec, s[14:15]
	global_load_ubyte v11, v[0:1], off offset:1
	s_mov_b64 s[14:15], exec
	s_waitcnt vmcnt(0)
	v_lshlrev_b32_e32 v11, 8, v11
	v_xor_b32_e32 v7, v11, v7
	s_andn2_saveexec_b64 s[16:17], s[16:17]
	s_cbranch_execz .LBB2_660
.LBB2_696:                              ;   in Loop: Header=BB2_588 Depth=2
	v_cmp_eq_u32_e32 vcc, 5, v6
	s_andn2_b64 s[14:15], s[14:15], exec
	s_and_b64 s[18:19], vcc, exec
	s_or_b64 s[14:15], s[14:15], s[18:19]
	v_mov_b32_e32 v7, v15
	s_or_b64 exec, exec, s[16:17]
	s_and_saveexec_b64 s[16:17], s[14:15]
	s_cbranch_execnz .LBB2_661
	s_branch .LBB2_662
.LBB2_697:                              ;   in Loop: Header=BB2_588 Depth=2
	v_cmp_ne_u16_e32 vcc, s98, v6
	s_mov_b64 s[14:15], -1
	s_and_b64 s[16:17], vcc, exec
	s_andn2_saveexec_b64 s[18:19], s[18:19]
	s_cbranch_execz .LBB2_683
.LBB2_698:                              ;   in Loop: Header=BB2_588 Depth=2
	v_cmp_ne_u16_e32 vcc, s89, v6
	s_andn2_b64 s[16:17], s[16:17], exec
	s_and_b64 s[20:21], vcc, exec
	s_or_b64 s[14:15], s[14:15], exec
	s_or_b64 s[16:17], s[16:17], s[20:21]
	s_or_b64 exec, exec, s[18:19]
	s_and_saveexec_b64 s[18:19], s[16:17]
	s_cbranch_execz .LBB2_585
.LBB2_699:                              ;   in Loop: Header=BB2_588 Depth=2
	v_add_co_u32_e32 v0, vcc, 1, v2
	v_addc_co_u32_e32 v1, vcc, 0, v3, vcc
	v_add_co_u32_e32 v2, vcc, v2, v4
	v_addc_co_u32_e32 v3, vcc, 0, v3, vcc
	v_cmp_ne_u16_e32 vcc, 0, v6
	global_store_byte v[2:3], v6, off
	v_addc_co_u32_e32 v5, vcc, 0, v5, vcc
	s_andn2_b64 s[14:15], s[14:15], exec
	v_mov_b32_e32 v6, v10
	v_pk_mov_b32 v[2:3], v[0:1], v[0:1] op_sel:[0,1]
	s_branch .LBB2_585
.LBB2_700:                              ;   in Loop: Header=BB2_588 Depth=2
	global_load_ubyte v15, v[6:7], off offset:6
	s_mov_b64 s[16:17], exec
	s_waitcnt vmcnt(0)
	v_lshlrev_b32_e32 v15, 16, v15
	s_or_saveexec_b64 s[18:19], s[18:19]
                                        ; implicit-def: $sgpr20
	s_xor_b64 exec, exec, s[18:19]
	s_cbranch_execz .LBB2_642
.LBB2_701:                              ;   in Loop: Header=BB2_588 Depth=2
	v_cmp_eq_u32_e32 vcc, 2, v11
	s_andn2_b64 s[16:17], s[16:17], exec
	s_and_b64 s[22:23], vcc, exec
	s_mov_b32 s20, 0
	v_mov_b32_e32 v15, 0
	s_or_b64 s[16:17], s[16:17], s[22:23]
	s_or_b64 exec, exec, s[18:19]
	v_mov_b32_e32 v19, s20
	s_and_saveexec_b64 s[18:19], s[16:17]
	s_cbranch_execnz .LBB2_643
	s_branch .LBB2_644
.LBB2_702:                              ;   in Loop: Header=BB2_588 Depth=2
	v_cmp_eq_u32_e32 vcc, 2, v11
	s_and_saveexec_b64 s[20:21], vcc
	s_cbranch_execz .LBB2_704
; %bb.703:                              ;   in Loop: Header=BB2_588 Depth=2
	global_load_ubyte v11, v[6:7], off offset:5
	s_mov_b64 s[16:17], exec
	s_waitcnt vmcnt(0)
	v_lshlrev_b32_e32 v11, 8, v11
	v_xor_b32_e32 v15, v11, v15
.LBB2_704:                              ;   in Loop: Header=BB2_588 Depth=2
	s_or_b64 exec, exec, s[20:21]
	s_and_b64 s[16:17], s[16:17], exec
                                        ; implicit-def: $vgpr11
	s_andn2_saveexec_b64 s[18:19], s[18:19]
	s_cbranch_execz .LBB2_646
.LBB2_705:                              ;   in Loop: Header=BB2_588 Depth=2
	v_cmp_eq_u32_e32 vcc, 1, v11
	s_andn2_b64 s[16:17], s[16:17], exec
	s_and_b64 s[20:21], vcc, exec
	s_or_b64 s[16:17], s[16:17], s[20:21]
	s_or_b64 exec, exec, s[18:19]
	s_and_saveexec_b64 s[18:19], s[16:17]
	s_cbranch_execnz .LBB2_647
	s_branch .LBB2_648
.LBB2_706:                              ;   in Loop: Header=BB2_588 Depth=2
	global_load_ubyte v6, v[6:7], off offset:5
	s_mov_b64 s[16:17], exec
	s_waitcnt vmcnt(0)
	v_lshlrev_b32_e32 v11, 8, v6
	s_or_saveexec_b64 s[18:19], s[18:19]
                                        ; implicit-def: $sgpr20
	s_xor_b64 exec, exec, s[18:19]
	s_cbranch_execz .LBB2_652
.LBB2_707:                              ;   in Loop: Header=BB2_588 Depth=2
	v_cmp_eq_u32_e32 vcc, 5, v14
	s_andn2_b64 s[16:17], s[16:17], exec
	s_and_b64 s[22:23], vcc, exec
	s_mov_b32 s20, 0
	v_mov_b32_e32 v11, 0
	s_or_b64 s[16:17], s[16:17], s[22:23]
	s_or_b64 exec, exec, s[18:19]
	v_mov_b32_e32 v6, s20
	s_and_saveexec_b64 s[18:19], s[16:17]
	s_cbranch_execnz .LBB2_653
	s_branch .LBB2_654
.LBB2_708:                              ;   in Loop: Header=BB2_13 Depth=1
	s_or_b64 exec, exec, s[10:11]
	v_cmp_gt_i32_e32 vcc, v5, v103
	s_and_saveexec_b64 s[4:5], vcc
	s_cbranch_execnz .LBB2_710
	s_branch .LBB2_714
.LBB2_709:                              ;   in Loop: Header=BB2_13 Depth=1
	v_mov_b32_e32 v6, 0x58
	v_mov_b32_e32 v5, 0
	v_cmp_gt_i32_e32 vcc, v5, v103
	s_and_saveexec_b64 s[4:5], vcc
	s_cbranch_execz .LBB2_714
.LBB2_710:                              ;   in Loop: Header=BB2_13 Depth=1
	v_cmp_lt_i32_e32 vcc, 0, v5
	s_and_saveexec_b64 s[10:11], vcc
	s_cbranch_execz .LBB2_713
; %bb.711:                              ;   in Loop: Header=BB2_13 Depth=1
	v_add_co_u32_e32 v0, vcc, v70, v4
	v_addc_co_u32_e32 v1, vcc, 0, v71, vcc
	s_mov_b64 s[12:13], 0
	s_mov_b64 s[14:15], 0
.LBB2_712:                              ;   Parent Loop BB2_13 Depth=1
                                        ; =>  This Inner Loop Header: Depth=2
	v_mov_b32_e32 v7, s15
	v_add_co_u32_e32 v2, vcc, s14, v0
	v_addc_co_u32_e32 v3, vcc, v1, v7, vcc
	global_load_ubyte v8, v[2:3], off
	v_add_co_u32_e32 v2, vcc, s14, v68
	s_add_u32 s14, s14, 1
	v_addc_co_u32_e32 v3, vcc, v69, v7, vcc
	s_addc_u32 s15, s15, 0
	v_cmp_eq_u32_e32 vcc, s14, v5
	s_or_b64 s[12:13], vcc, s[12:13]
	s_waitcnt vmcnt(0)
	global_store_byte v[2:3], v8, off
	s_andn2_b64 exec, exec, s[12:13]
	s_cbranch_execnz .LBB2_712
.LBB2_713:                              ;   in Loop: Header=BB2_13 Depth=1
	s_or_b64 exec, exec, s[10:11]
	v_mov_b32_e32 v103, v5
.LBB2_714:                              ;   in Loop: Header=BB2_13 Depth=1
	s_or_b64 exec, exec, s[4:5]
	v_cmp_ne_u16_sdwa s[10:11], v6, s98 src0_sel:BYTE_0 src1_sel:DWORD
	s_mov_b64 s[4:5], 0
                                        ; implicit-def: $sgpr15
                                        ; implicit-def: $sgpr14
                                        ; implicit-def: $sgpr13
                                        ; implicit-def: $sgpr12
	s_and_saveexec_b64 s[16:17], s[10:11]
	s_xor_b64 s[10:11], exec, s[16:17]
; %bb.715:                              ;   in Loop: Header=BB2_13 Depth=1
	v_cmp_ne_u32_e32 vcc, -8, v105
	s_mov_b32 s13, -8
	s_mov_b32 s12, 0
	s_mov_b32 s14, 11
	;; [unrolled: 1-line block ×3, first 2 shown]
	s_and_b64 s[4:5], vcc, exec
                                        ; implicit-def: $vgpr105
; %bb.716:                              ;   in Loop: Header=BB2_13 Depth=1
	s_or_saveexec_b64 s[10:11], s[10:11]
	v_mov_b32_e32 v2, s15
	v_mov_b32_e32 v1, s14
	;; [unrolled: 1-line block ×4, first 2 shown]
	s_xor_b64 exec, exec, s[10:11]
; %bb.717:                              ;   in Loop: Header=BB2_13 Depth=1
	v_cmp_ne_u32_e32 vcc, 8, v105
	s_andn2_b64 s[4:5], s[4:5], exec
	s_and_b64 s[12:13], vcc, exec
	v_mov_b32_e32 v2, -8
	v_mov_b32_e32 v1, 11
	v_mov_b32_e32 v3, 8
	;; [unrolled: 1-line block ×3, first 2 shown]
	s_or_b64 s[4:5], s[4:5], s[12:13]
; %bb.718:                              ;   in Loop: Header=BB2_13 Depth=1
	s_or_b64 exec, exec, s[10:11]
	v_mov_b32_e32 v105, v3
	s_and_saveexec_b64 s[10:11], s[4:5]
; %bb.719:                              ;   in Loop: Header=BB2_13 Depth=1
	v_mov_b32_e32 v1, 0
	v_mov_b32_e32 v0, v104
	;; [unrolled: 1-line block ×3, first 2 shown]
; %bb.720:                              ;   in Loop: Header=BB2_13 Depth=1
	s_or_b64 exec, exec, s[10:11]
	v_cmp_gt_i32_e32 vcc, 11, v1
	s_mov_b64 s[4:5], -1
	s_and_saveexec_b64 s[10:11], vcc
; %bb.721:                              ;   in Loop: Header=BB2_13 Depth=1
	v_cmp_eq_u32_e32 vcc, 0, v1
	s_orn2_b64 s[4:5], vcc, exec
; %bb.722:                              ;   in Loop: Header=BB2_13 Depth=1
	s_or_b64 exec, exec, s[10:11]
	s_orn2_b64 s[4:5], s[4:5], exec
	v_mov_b32_e32 v104, v0
.LBB2_723:                              ;   in Loop: Header=BB2_13 Depth=1
	s_or_b64 exec, exec, s[8:9]
	s_and_saveexec_b64 s[8:9], s[4:5]
	s_cbranch_execz .LBB2_12
; %bb.724:                              ;   in Loop: Header=BB2_13 Depth=1
	v_lshlrev_b32_e32 v0, 2, v98
	v_and_b32_e32 v0, 0x100, v0
	ds_bpermute_b32 v104, v0, v104
	s_mov_b64 s[4:5], -1
	s_waitcnt lgkmcnt(0)
	v_cmp_ne_u32_e32 vcc, 0, v104
	s_and_saveexec_b64 s[6:7], vcc
	s_cbranch_execz .LBB2_11
; %bb.725:                              ;   in Loop: Header=BB2_13 Depth=1
	ds_bpermute_b32 v105, v0, v105
	s_waitcnt lgkmcnt(0)
	v_add_u32_e32 v4, v105, v4
	v_cmp_gt_i32_e32 vcc, 21, v4
	v_cmp_gt_i32_e64 s[4:5], v4, v89
	s_or_b64 s[4:5], vcc, s[4:5]
	s_orn2_b64 s[4:5], s[4:5], exec
	s_branch .LBB2_11
.LBB2_726:
	s_or_b64 exec, exec, s[70:71]
.LBB2_727:
	s_or_b64 exec, exec, s[54:55]
	v_cmp_eq_u32_e32 vcc, 0, v72
	s_and_b64 exec, exec, vcc
	s_cbranch_execz .LBB2_729
; %bb.728:
	v_max_i32_e32 v0, 0, v103
	global_store_dword v55, v0, s[68:69]
.LBB2_729:
	s_endpgm
	.section	.rodata,"a",@progbits
	.p2align	6, 0x0
	.amdhsa_kernel _Z22iterative_walks_kernelILi64EEvPjS0_PcS1_S1_S0_S0_PdP6loc_htS0_P11loc_ht_boolijS0_llliijS1_S1_S0_i
		.amdhsa_group_segment_fixed_size 16384
		.amdhsa_private_segment_fixed_size 88
		.amdhsa_kernarg_size 432
		.amdhsa_user_sgpr_count 10
		.amdhsa_user_sgpr_private_segment_buffer 1
		.amdhsa_user_sgpr_dispatch_ptr 1
		.amdhsa_user_sgpr_queue_ptr 0
		.amdhsa_user_sgpr_kernarg_segment_ptr 1
		.amdhsa_user_sgpr_dispatch_id 0
		.amdhsa_user_sgpr_flat_scratch_init 1
		.amdhsa_user_sgpr_kernarg_preload_length 0
		.amdhsa_user_sgpr_kernarg_preload_offset 0
		.amdhsa_user_sgpr_private_segment_size 0
		.amdhsa_uses_dynamic_stack 0
		.amdhsa_system_sgpr_private_segment_wavefront_offset 1
		.amdhsa_system_sgpr_workgroup_id_x 1
		.amdhsa_system_sgpr_workgroup_id_y 0
		.amdhsa_system_sgpr_workgroup_id_z 0
		.amdhsa_system_sgpr_workgroup_info 0
		.amdhsa_system_vgpr_workitem_id 2
		.amdhsa_next_free_vgpr 113
		.amdhsa_next_free_sgpr 100
		.amdhsa_accum_offset 116
		.amdhsa_reserve_vcc 1
		.amdhsa_reserve_flat_scratch 1
		.amdhsa_float_round_mode_32 0
		.amdhsa_float_round_mode_16_64 0
		.amdhsa_float_denorm_mode_32 3
		.amdhsa_float_denorm_mode_16_64 3
		.amdhsa_dx10_clamp 1
		.amdhsa_ieee_mode 1
		.amdhsa_fp16_overflow 0
		.amdhsa_tg_split 0
		.amdhsa_exception_fp_ieee_invalid_op 0
		.amdhsa_exception_fp_denorm_src 0
		.amdhsa_exception_fp_ieee_div_zero 0
		.amdhsa_exception_fp_ieee_overflow 0
		.amdhsa_exception_fp_ieee_underflow 0
		.amdhsa_exception_fp_ieee_inexact 0
		.amdhsa_exception_int_div_zero 0
	.end_amdhsa_kernel
	.section	.text._Z22iterative_walks_kernelILi64EEvPjS0_PcS1_S1_S0_S0_PdP6loc_htS0_P11loc_ht_boolijS0_llliijS1_S1_S0_i,"axG",@progbits,_Z22iterative_walks_kernelILi64EEvPjS0_PcS1_S1_S0_S0_PdP6loc_htS0_P11loc_ht_boolijS0_llliijS1_S1_S0_i,comdat
.Lfunc_end2:
	.size	_Z22iterative_walks_kernelILi64EEvPjS0_PcS1_S1_S0_S0_PdP6loc_htS0_P11loc_ht_boolijS0_llliijS1_S1_S0_i, .Lfunc_end2-_Z22iterative_walks_kernelILi64EEvPjS0_PcS1_S1_S0_S0_PdP6loc_htS0_P11loc_ht_boolijS0_llliijS1_S1_S0_i
                                        ; -- End function
	.section	.AMDGPU.csdata,"",@progbits
; Kernel info:
; codeLenInByte = 22140
; NumSgprs: 106
; NumVgprs: 113
; NumAgprs: 0
; TotalNumVgprs: 113
; ScratchSize: 88
; MemoryBound: 0
; FloatMode: 240
; IeeeMode: 1
; LDSByteSize: 16384 bytes/workgroup (compile time only)
; SGPRBlocks: 13
; VGPRBlocks: 14
; NumSGPRsForWavesPerEU: 106
; NumVGPRsForWavesPerEU: 113
; AccumOffset: 116
; Occupancy: 4
; WaveLimiterHint : 1
; COMPUTE_PGM_RSRC2:SCRATCH_EN: 1
; COMPUTE_PGM_RSRC2:USER_SGPR: 10
; COMPUTE_PGM_RSRC2:TRAP_HANDLER: 0
; COMPUTE_PGM_RSRC2:TGID_X_EN: 1
; COMPUTE_PGM_RSRC2:TGID_Y_EN: 0
; COMPUTE_PGM_RSRC2:TGID_Z_EN: 0
; COMPUTE_PGM_RSRC2:TIDIG_COMP_CNT: 2
; COMPUTE_PGM_RSRC3_GFX90A:ACCUM_OFFSET: 28
; COMPUTE_PGM_RSRC3_GFX90A:TG_SPLIT: 0
	.text
	.p2alignl 6, 3212836864
	.fill 256, 4, 3212836864
	.type	.str.2,@object                  ; @.str.2
	.section	.rodata.str1.1,"aMS",@progbits,1
.str.2:
	.asciz	"*****end reached, hashtable full*****\n"
	.size	.str.2, 39

	.type	.str.3,@object                  ; @.str.3
.str.3:
	.asciz	"*********ASSERTION FAILURE IN COUNT_MERS****"
	.size	.str.3, 45

	.type	.str.4,@object                  ; @.str.4
.str.4:
	.asciz	"******* ASSERTION FAILED IN sort_merbase************"
	.size	.str.4, 53

	.type	__hip_cuid_c02303edd28d2b01,@object ; @__hip_cuid_c02303edd28d2b01
	.section	.bss,"aw",@nobits
	.globl	__hip_cuid_c02303edd28d2b01
__hip_cuid_c02303edd28d2b01:
	.byte	0                               ; 0x0
	.size	__hip_cuid_c02303edd28d2b01, 1

	.ident	"AMD clang version 19.0.0git (https://github.com/RadeonOpenCompute/llvm-project roc-6.4.0 25133 c7fe45cf4b819c5991fe208aaa96edf142730f1d)"
	.section	".note.GNU-stack","",@progbits
	.addrsig
	.addrsig_sym __hip_cuid_c02303edd28d2b01
	.amdgpu_metadata
---
amdhsa.kernels:
  - .agpr_count:     0
    .args:
      - .address_space:  global
        .offset:         0
        .size:           8
        .value_kind:     global_buffer
      - .address_space:  global
        .offset:         8
        .size:           8
        .value_kind:     global_buffer
      - .address_space:  global
        .offset:         16
        .size:           8
        .value_kind:     global_buffer
      - .address_space:  global
        .offset:         24
        .size:           8
        .value_kind:     global_buffer
      - .address_space:  global
        .offset:         32
        .size:           8
        .value_kind:     global_buffer
      - .address_space:  global
        .offset:         40
        .size:           8
        .value_kind:     global_buffer
      - .address_space:  global
        .offset:         48
        .size:           8
        .value_kind:     global_buffer
      - .address_space:  global
        .offset:         56
        .size:           8
        .value_kind:     global_buffer
      - .address_space:  global
        .offset:         64
        .size:           8
        .value_kind:     global_buffer
      - .address_space:  global
        .offset:         72
        .size:           8
        .value_kind:     global_buffer
      - .address_space:  global
        .offset:         80
        .size:           8
        .value_kind:     global_buffer
      - .offset:         88
        .size:           4
        .value_kind:     by_value
      - .offset:         92
        .size:           4
        .value_kind:     by_value
      - .address_space:  global
        .offset:         96
        .size:           8
        .value_kind:     global_buffer
      - .offset:         104
        .size:           8
        .value_kind:     by_value
      - .offset:         112
        .size:           8
        .value_kind:     by_value
      - .offset:         120
        .size:           8
        .value_kind:     by_value
      - .offset:         128
        .size:           4
        .value_kind:     by_value
      - .offset:         132
        .size:           4
        .value_kind:     by_value
      - .offset:         136
        .size:           4
        .value_kind:     by_value
      - .address_space:  global
        .offset:         144
        .size:           8
        .value_kind:     global_buffer
      - .address_space:  global
        .offset:         152
        .size:           8
        .value_kind:     global_buffer
      - .address_space:  global
        .offset:         160
        .size:           8
        .value_kind:     global_buffer
      - .offset:         168
        .size:           4
        .value_kind:     by_value
      - .offset:         176
        .size:           4
        .value_kind:     hidden_block_count_x
      - .offset:         180
        .size:           4
        .value_kind:     hidden_block_count_y
      - .offset:         184
        .size:           4
        .value_kind:     hidden_block_count_z
      - .offset:         188
        .size:           2
        .value_kind:     hidden_group_size_x
      - .offset:         190
        .size:           2
        .value_kind:     hidden_group_size_y
      - .offset:         192
        .size:           2
        .value_kind:     hidden_group_size_z
      - .offset:         194
        .size:           2
        .value_kind:     hidden_remainder_x
      - .offset:         196
        .size:           2
        .value_kind:     hidden_remainder_y
      - .offset:         198
        .size:           2
        .value_kind:     hidden_remainder_z
      - .offset:         216
        .size:           8
        .value_kind:     hidden_global_offset_x
      - .offset:         224
        .size:           8
        .value_kind:     hidden_global_offset_y
      - .offset:         232
        .size:           8
        .value_kind:     hidden_global_offset_z
      - .offset:         240
        .size:           2
        .value_kind:     hidden_grid_dims
      - .offset:         256
        .size:           8
        .value_kind:     hidden_hostcall_buffer
    .group_segment_fixed_size: 16384
    .kernarg_segment_align: 8
    .kernarg_segment_size: 432
    .language:       OpenCL C
    .language_version:
      - 2
      - 0
    .max_flat_workgroup_size: 1024
    .name:           _Z22iterative_walks_kernelILi32EEvPjS0_PcS1_S1_S0_S0_PdP6loc_htS0_P11loc_ht_boolijS0_llliijS1_S1_S0_i
    .private_segment_fixed_size: 88
    .sgpr_count:     106
    .sgpr_spill_count: 0
    .symbol:         _Z22iterative_walks_kernelILi32EEvPjS0_PcS1_S1_S0_S0_PdP6loc_htS0_P11loc_ht_boolijS0_llliijS1_S1_S0_i.kd
    .uniform_work_group_size: 1
    .uses_dynamic_stack: false
    .vgpr_count:     113
    .vgpr_spill_count: 0
    .wavefront_size: 64
  - .agpr_count:     0
    .args:
      - .address_space:  global
        .offset:         0
        .size:           8
        .value_kind:     global_buffer
      - .address_space:  global
        .offset:         8
        .size:           8
        .value_kind:     global_buffer
      - .address_space:  global
        .offset:         16
        .size:           8
        .value_kind:     global_buffer
      - .address_space:  global
        .offset:         24
        .size:           8
        .value_kind:     global_buffer
      - .address_space:  global
        .offset:         32
        .size:           8
        .value_kind:     global_buffer
      - .address_space:  global
        .offset:         40
        .size:           8
        .value_kind:     global_buffer
      - .address_space:  global
        .offset:         48
        .size:           8
        .value_kind:     global_buffer
      - .address_space:  global
        .offset:         56
        .size:           8
        .value_kind:     global_buffer
      - .address_space:  global
        .offset:         64
        .size:           8
        .value_kind:     global_buffer
      - .address_space:  global
        .offset:         72
        .size:           8
        .value_kind:     global_buffer
      - .address_space:  global
        .offset:         80
        .size:           8
        .value_kind:     global_buffer
      - .offset:         88
        .size:           4
        .value_kind:     by_value
      - .offset:         92
        .size:           4
        .value_kind:     by_value
      - .address_space:  global
        .offset:         96
        .size:           8
        .value_kind:     global_buffer
      - .offset:         104
        .size:           8
        .value_kind:     by_value
      - .offset:         112
        .size:           8
        .value_kind:     by_value
      - .offset:         120
        .size:           8
        .value_kind:     by_value
      - .offset:         128
        .size:           4
        .value_kind:     by_value
      - .offset:         132
        .size:           4
        .value_kind:     by_value
      - .offset:         136
        .size:           4
        .value_kind:     by_value
      - .address_space:  global
        .offset:         144
        .size:           8
        .value_kind:     global_buffer
      - .address_space:  global
        .offset:         152
        .size:           8
        .value_kind:     global_buffer
      - .address_space:  global
        .offset:         160
        .size:           8
        .value_kind:     global_buffer
      - .offset:         168
        .size:           4
        .value_kind:     by_value
      - .offset:         176
        .size:           4
        .value_kind:     hidden_block_count_x
      - .offset:         180
        .size:           4
        .value_kind:     hidden_block_count_y
      - .offset:         184
        .size:           4
        .value_kind:     hidden_block_count_z
      - .offset:         188
        .size:           2
        .value_kind:     hidden_group_size_x
      - .offset:         190
        .size:           2
        .value_kind:     hidden_group_size_y
      - .offset:         192
        .size:           2
        .value_kind:     hidden_group_size_z
      - .offset:         194
        .size:           2
        .value_kind:     hidden_remainder_x
      - .offset:         196
        .size:           2
        .value_kind:     hidden_remainder_y
      - .offset:         198
        .size:           2
        .value_kind:     hidden_remainder_z
      - .offset:         216
        .size:           8
        .value_kind:     hidden_global_offset_x
      - .offset:         224
        .size:           8
        .value_kind:     hidden_global_offset_y
      - .offset:         232
        .size:           8
        .value_kind:     hidden_global_offset_z
      - .offset:         240
        .size:           2
        .value_kind:     hidden_grid_dims
      - .offset:         256
        .size:           8
        .value_kind:     hidden_hostcall_buffer
    .group_segment_fixed_size: 16384
    .kernarg_segment_align: 8
    .kernarg_segment_size: 432
    .language:       OpenCL C
    .language_version:
      - 2
      - 0
    .max_flat_workgroup_size: 1024
    .name:           _Z22iterative_walks_kernelILi64EEvPjS0_PcS1_S1_S0_S0_PdP6loc_htS0_P11loc_ht_boolijS0_llliijS1_S1_S0_i
    .private_segment_fixed_size: 88
    .sgpr_count:     106
    .sgpr_spill_count: 0
    .symbol:         _Z22iterative_walks_kernelILi64EEvPjS0_PcS1_S1_S0_S0_PdP6loc_htS0_P11loc_ht_boolijS0_llliijS1_S1_S0_i.kd
    .uniform_work_group_size: 1
    .uses_dynamic_stack: false
    .vgpr_count:     113
    .vgpr_spill_count: 0
    .wavefront_size: 64
amdhsa.target:   amdgcn-amd-amdhsa--gfx90a
amdhsa.version:
  - 1
  - 2
...

	.end_amdgpu_metadata
